;; amdgpu-corpus repo=ROCm/rocFFT kind=compiled arch=gfx950 opt=O3
	.text
	.amdgcn_target "amdgcn-amd-amdhsa--gfx950"
	.amdhsa_code_object_version 6
	.protected	bluestein_single_fwd_len910_dim1_dp_op_CI_CI ; -- Begin function bluestein_single_fwd_len910_dim1_dp_op_CI_CI
	.globl	bluestein_single_fwd_len910_dim1_dp_op_CI_CI
	.p2align	8
	.type	bluestein_single_fwd_len910_dim1_dp_op_CI_CI,@function
bluestein_single_fwd_len910_dim1_dp_op_CI_CI: ; @bluestein_single_fwd_len910_dim1_dp_op_CI_CI
; %bb.0:
	s_load_dwordx4 s[4:7], s[0:1], 0x28
	v_mul_u32_u24_e32 v1, 0x2d1, v0
	v_lshrrev_b32_e32 v1, 16, v1
	v_mov_b32_e32 v177, 0
	v_lshl_add_u32 v180, s2, 1, v1
	v_mov_b32_e32 v181, v177
	s_waitcnt lgkmcnt(0)
	v_cmp_gt_u64_e32 vcc, s[4:5], v[180:181]
	s_and_saveexec_b64 s[2:3], vcc
	s_cbranch_execz .LBB0_23
; %bb.1:
	s_load_dwordx2 s[14:15], s[0:1], 0x0
	s_load_dwordx2 s[12:13], s[0:1], 0x38
	v_mul_lo_u16_e32 v2, 0x5b, v1
	v_sub_u16_e32 v176, v0, v2
	v_and_b32_e32 v0, 1, v1
	v_mov_b32_e32 v1, 0x38e
	v_cmp_eq_u32_e32 vcc, 1, v0
	s_movk_i32 s2, 0x46
	v_cmp_gt_u16_e64 s[4:5], s2, v176
	v_cndmask_b32_e32 v218, 0, v1, vcc
	v_lshlrev_b32_e32 v214, 4, v176
	v_lshlrev_b32_e32 v219, 4, v218
	s_and_saveexec_b64 s[2:3], s[4:5]
	s_cbranch_execz .LBB0_3
; %bb.2:
	s_load_dwordx2 s[8:9], s[0:1], 0x18
	v_mov_b32_e32 v0, s6
	v_mov_b32_e32 v1, s7
	;; [unrolled: 1-line block ×4, first 2 shown]
	s_waitcnt lgkmcnt(0)
	s_load_dwordx4 s[8:11], s[8:9], 0x0
	v_lshl_add_u64 v[36:37], s[14:15], 0, v[214:215]
	s_waitcnt lgkmcnt(0)
	v_mad_u64_u32 v[2:3], s[6:7], s10, v180, 0
	v_mad_u64_u32 v[4:5], s[6:7], s8, v176, 0
	v_mov_b32_e32 v6, v3
	v_mov_b32_e32 v8, v5
	v_mad_u64_u32 v[6:7], s[6:7], s11, v180, v[6:7]
	v_mov_b32_e32 v3, v6
	v_mad_u64_u32 v[6:7], s[6:7], s9, v176, v[8:9]
	v_mov_b32_e32 v5, v6
	v_lshl_add_u64 v[0:1], v[2:3], 4, v[0:1]
	v_lshl_add_u64 v[8:9], v[4:5], 4, v[0:1]
	v_mad_u64_u32 v[24:25], s[6:7], s8, v100, v[8:9]
	s_mul_i32 s6, s9, 0x460
	global_load_dwordx4 v[0:3], v[8:9], off
	global_load_dwordx4 v[4:7], v214, s[14:15]
	v_add_u32_e32 v25, s6, v25
	v_mad_u64_u32 v[26:27], s[10:11], s8, v100, v[24:25]
	v_add_u32_e32 v27, s6, v27
	global_load_dwordx4 v[12:15], v[24:25], off
	global_load_dwordx4 v[8:11], v[26:27], off
	global_load_dwordx4 v[16:19], v214, s[14:15] offset:1120
	global_load_dwordx4 v[20:23], v214, s[14:15] offset:2240
	v_mad_u64_u32 v[38:39], s[10:11], s8, v100, v[26:27]
	v_add_u32_e32 v39, s6, v39
	v_mad_u64_u32 v[40:41], s[10:11], s8, v100, v[38:39]
	global_load_dwordx4 v[24:27], v214, s[14:15] offset:3360
	v_add_u32_e32 v41, s6, v41
	global_load_dwordx4 v[32:35], v[38:39], off
	global_load_dwordx4 v[28:31], v[40:41], off
	s_movk_i32 s7, 0x1000
	v_mad_u64_u32 v[50:51], s[10:11], s8, v100, v[40:41]
	v_add_co_u32_e32 v66, vcc, s7, v36
	v_add_u32_e32 v51, s6, v51
	s_nop 0
	v_addc_co_u32_e32 v67, vcc, 0, v37, vcc
	global_load_dwordx4 v[38:41], v[50:51], off
	global_load_dwordx4 v[42:45], v[66:67], off offset:384
	global_load_dwordx4 v[46:49], v[66:67], off offset:1504
	v_mad_u64_u32 v[54:55], s[10:11], s8, v100, v[50:51]
	v_add_u32_e32 v55, s6, v55
	v_mad_u64_u32 v[68:69], s[10:11], s8, v100, v[54:55]
	global_load_dwordx4 v[50:53], v[54:55], off
	v_add_u32_e32 v69, s6, v69
	global_load_dwordx4 v[54:57], v[68:69], off
	global_load_dwordx4 v[58:61], v[66:67], off offset:2624
	global_load_dwordx4 v[62:65], v[66:67], off offset:3744
	v_mad_u64_u32 v[70:71], s[10:11], s8, v100, v[68:69]
	v_add_u32_e32 v71, s6, v71
	s_movk_i32 s7, 0x2000
	v_mad_u64_u32 v[82:83], s[10:11], s8, v100, v[70:71]
	global_load_dwordx4 v[66:69], v[70:71], off
	v_add_co_u32_e32 v90, vcc, s7, v36
	v_add_u32_e32 v83, s6, v83
	s_nop 0
	v_addc_co_u32_e32 v91, vcc, 0, v37, vcc
	global_load_dwordx4 v[70:73], v[82:83], off
	global_load_dwordx4 v[74:77], v[90:91], off offset:768
	global_load_dwordx4 v[78:81], v[90:91], off offset:1888
	v_mad_u64_u32 v[92:93], s[10:11], s8, v100, v[82:83]
	v_add_u32_e32 v93, s6, v93
	s_movk_i32 s7, 0x3000
	global_load_dwordx4 v[82:85], v[92:93], off
	global_load_dwordx4 v[86:89], v[90:91], off offset:3008
	v_mad_u64_u32 v[98:99], s[10:11], s8, v100, v[92:93]
	v_add_co_u32_e32 v36, vcc, s7, v36
	v_add_u32_e32 v99, s6, v99
	s_nop 0
	v_addc_co_u32_e32 v37, vcc, 0, v37, vcc
	global_load_dwordx4 v[90:93], v[98:99], off
	global_load_dwordx4 v[94:97], v[36:37], off offset:32
	v_mad_u64_u32 v[106:107], s[8:9], s8, v100, v[98:99]
	v_add_u32_e32 v107, s6, v107
	global_load_dwordx4 v[98:101], v[106:107], off
	global_load_dwordx4 v[102:105], v[36:37], off offset:1152
	v_lshl_add_u32 v36, v176, 4, v219
	s_waitcnt vmcnt(24)
	v_mul_f64 v[106:107], v[2:3], v[6:7]
	v_fmac_f64_e32 v[106:107], v[0:1], v[4:5]
	v_mul_f64 v[0:1], v[0:1], v[6:7]
	v_fma_f64 v[108:109], v[2:3], v[4:5], -v[0:1]
	s_waitcnt vmcnt(21)
	v_mul_f64 v[0:1], v[14:15], v[18:19]
	v_mul_f64 v[2:3], v[12:13], v[18:19]
	v_fmac_f64_e32 v[0:1], v[12:13], v[16:17]
	v_add_u32_e32 v4, v219, v214
	v_fma_f64 v[2:3], v[14:15], v[16:17], -v[2:3]
	ds_write_b128 v36, v[106:109]
	ds_write_b128 v4, v[0:3] offset:1120
	s_waitcnt vmcnt(20)
	v_mul_f64 v[0:1], v[10:11], v[22:23]
	v_mul_f64 v[2:3], v[8:9], v[22:23]
	v_fmac_f64_e32 v[0:1], v[8:9], v[20:21]
	v_fma_f64 v[2:3], v[10:11], v[20:21], -v[2:3]
	ds_write_b128 v4, v[0:3] offset:2240
	s_waitcnt vmcnt(18)
	v_mul_f64 v[0:1], v[34:35], v[26:27]
	v_mul_f64 v[2:3], v[32:33], v[26:27]
	v_fmac_f64_e32 v[0:1], v[32:33], v[24:25]
	v_fma_f64 v[2:3], v[34:35], v[24:25], -v[2:3]
	;; [unrolled: 6-line block ×11, first 2 shown]
	ds_write_b128 v4, v[0:3] offset:13440
.LBB0_3:
	s_or_b64 exec, exec, s[2:3]
	s_load_dwordx2 s[2:3], s[0:1], 0x20
	s_load_dwordx2 s[6:7], s[0:1], 0x8
	s_waitcnt lgkmcnt(0)
	s_barrier
	s_waitcnt lgkmcnt(0)
                                        ; implicit-def: $vgpr0_vgpr1
                                        ; implicit-def: $vgpr4_vgpr5
                                        ; implicit-def: $vgpr8_vgpr9
                                        ; implicit-def: $vgpr12_vgpr13
                                        ; implicit-def: $vgpr16_vgpr17
                                        ; implicit-def: $vgpr20_vgpr21
                                        ; implicit-def: $vgpr24_vgpr25
                                        ; implicit-def: $vgpr28_vgpr29
                                        ; implicit-def: $vgpr32_vgpr33
                                        ; implicit-def: $vgpr36_vgpr37
                                        ; implicit-def: $vgpr40_vgpr41
                                        ; implicit-def: $vgpr44_vgpr45
                                        ; implicit-def: $vgpr48_vgpr49
	s_and_saveexec_b64 s[0:1], s[4:5]
	s_cbranch_execz .LBB0_5
; %bb.4:
	v_lshl_add_u32 v48, v218, 4, v214
	ds_read_b128 v[0:3], v48
	ds_read_b128 v[4:7], v48 offset:1120
	ds_read_b128 v[8:11], v48 offset:2240
	ds_read_b128 v[12:15], v48 offset:3360
	ds_read_b128 v[16:19], v48 offset:4480
	ds_read_b128 v[20:23], v48 offset:5600
	ds_read_b128 v[24:27], v48 offset:6720
	ds_read_b128 v[28:31], v48 offset:7840
	ds_read_b128 v[32:35], v48 offset:8960
	ds_read_b128 v[36:39], v48 offset:10080
	ds_read_b128 v[40:43], v48 offset:11200
	ds_read_b128 v[44:47], v48 offset:12320
	ds_read_b128 v[48:51], v48 offset:13440
.LBB0_5:
	s_or_b64 exec, exec, s[0:1]
	s_mov_b32 s26, 0x4267c47c
	s_waitcnt lgkmcnt(0)
	v_add_f64 v[80:81], v[6:7], -v[50:51]
	s_mov_b32 s0, 0xe00740e9
	s_mov_b32 s27, 0xbfddbe06
	;; [unrolled: 1-line block ×3, first 2 shown]
	v_add_f64 v[92:93], v[4:5], v[48:49]
	v_add_f64 v[100:101], v[4:5], -v[48:49]
	s_mov_b32 s1, 0x3fec55a7
	v_mul_f64 v[84:85], v[80:81], s[26:27]
	s_mov_b32 s8, 0x1ea71119
	s_mov_b32 s31, 0xbfea55e2
	v_add_f64 v[122:123], v[10:11], -v[46:47]
	v_add_f64 v[82:83], v[6:7], v[50:51]
	v_mul_f64 v[86:87], v[100:101], s[26:27]
	v_fma_f64 v[52:53], s[0:1], v[92:93], v[84:85]
	s_mov_b32 s9, 0x3fe22d96
	s_mov_b32 s22, 0x66966769
	v_add_f64 v[104:105], v[8:9], v[44:45]
	v_add_f64 v[110:111], v[8:9], -v[44:45]
	v_mul_f64 v[88:89], v[122:123], s[30:31]
	v_add_f64 v[52:53], v[0:1], v[52:53]
	v_fma_f64 v[54:55], v[82:83], s[0:1], -v[86:87]
	s_mov_b32 s10, 0xebaa3ed8
	s_mov_b32 s23, 0xbfefc445
	v_add_f64 v[138:139], v[10:11], v[46:47]
	v_mul_f64 v[90:91], v[110:111], s[30:31]
	v_fma_f64 v[56:57], s[8:9], v[104:105], v[88:89]
	v_add_f64 v[158:159], v[14:15], -v[42:43]
	v_add_f64 v[54:55], v[2:3], v[54:55]
	s_mov_b32 s11, 0x3fbedb7d
	v_add_f64 v[52:53], v[56:57], v[52:53]
	v_fma_f64 v[56:57], v[138:139], s[8:9], -v[90:91]
	s_mov_b32 s24, 0x2ef20147
	v_add_f64 v[112:113], v[12:13], v[40:41]
	v_add_f64 v[126:127], v[12:13], -v[40:41]
	v_mul_f64 v[94:95], v[158:159], s[22:23]
	v_add_f64 v[54:55], v[56:57], v[54:55]
	s_mov_b32 s16, 0xb2365da1
	s_mov_b32 s25, 0xbfedeba7
	v_add_f64 v[130:131], v[14:15], v[42:43]
	v_mul_f64 v[96:97], v[126:127], s[22:23]
	v_fma_f64 v[56:57], s[10:11], v[112:113], v[94:95]
	v_add_f64 v[174:175], v[18:19], -v[38:39]
	s_mov_b32 s17, 0xbfd6b1d8
	v_add_f64 v[52:53], v[56:57], v[52:53]
	v_fma_f64 v[56:57], v[130:131], s[10:11], -v[96:97]
	v_add_f64 v[120:121], v[16:17], v[36:37]
	v_add_f64 v[152:153], v[16:17], -v[36:37]
	v_mul_f64 v[98:99], v[174:175], s[24:25]
	s_mov_b32 s34, 0x24c2f84
	v_add_f64 v[54:55], v[56:57], v[54:55]
	v_add_f64 v[132:133], v[18:19], v[38:39]
	v_mul_f64 v[102:103], v[152:153], s[24:25]
	v_fma_f64 v[56:57], s[16:17], v[120:121], v[98:99]
	s_mov_b32 s28, 0xd0032e0c
	s_mov_b32 s35, 0x3fe5384d
	v_add_f64 v[204:205], v[22:23], -v[34:35]
	s_mov_b32 s39, 0xbfe5384d
	s_mov_b32 s38, s34
	;; [unrolled: 1-line block ×3, first 2 shown]
	v_add_f64 v[52:53], v[56:57], v[52:53]
	v_fma_f64 v[56:57], v[132:133], s[16:17], -v[102:103]
	s_mov_b32 s29, 0xbfe7f3cc
	v_add_f64 v[146:147], v[20:21], v[32:33]
	v_add_f64 v[178:179], v[20:21], -v[32:33]
	v_mul_f64 v[106:107], v[204:205], s[38:39]
	s_mov_b32 s20, 0x93053d00
	s_mov_b32 s37, 0xbfcea1e5
	v_add_f64 v[54:55], v[56:57], v[54:55]
	v_add_f64 v[148:149], v[22:23], v[34:35]
	v_mul_f64 v[108:109], v[178:179], s[38:39]
	v_fma_f64 v[56:57], s[28:29], v[146:147], v[106:107]
	v_add_f64 v[216:217], v[26:27], -v[30:31]
	s_mov_b32 s21, 0xbfef11f4
	v_add_f64 v[52:53], v[56:57], v[52:53]
	v_fma_f64 v[56:57], v[148:149], s[28:29], -v[108:109]
	v_add_f64 v[156:157], v[24:25], v[28:29]
	v_mul_f64 v[114:115], v[216:217], s[36:37]
	v_add_f64 v[208:209], v[24:25], -v[28:29]
	v_add_f64 v[54:55], v[56:57], v[54:55]
	v_fma_f64 v[56:57], s[20:21], v[156:157], v[114:115]
	v_add_f64 v[162:163], v[26:27], v[30:31]
	v_mul_f64 v[116:117], v[208:209], s[36:37]
	v_add_f64 v[68:69], v[56:57], v[52:53]
	v_fma_f64 v[52:53], v[162:163], s[20:21], -v[116:117]
	v_mul_f64 v[118:119], v[80:81], s[30:31]
	v_add_f64 v[70:71], v[52:53], v[54:55]
	v_fma_f64 v[52:53], s[8:9], v[92:93], v[118:119]
	v_mul_f64 v[124:125], v[122:123], s[24:25]
	v_add_f64 v[52:53], v[0:1], v[52:53]
	v_fma_f64 v[54:55], s[16:17], v[104:105], v[124:125]
	v_mul_f64 v[134:135], v[100:101], s[30:31]
	v_add_f64 v[52:53], v[54:55], v[52:53]
	v_fma_f64 v[54:55], v[82:83], s[8:9], -v[134:135]
	v_mul_f64 v[140:141], v[110:111], s[24:25]
	v_add_f64 v[54:55], v[2:3], v[54:55]
	v_fma_f64 v[56:57], v[138:139], s[16:17], -v[140:141]
	v_mul_f64 v[128:129], v[158:159], s[36:37]
	v_add_f64 v[54:55], v[56:57], v[54:55]
	v_fma_f64 v[56:57], s[20:21], v[112:113], v[128:129]
	v_mul_f64 v[144:145], v[126:127], s[36:37]
	v_add_f64 v[52:53], v[56:57], v[52:53]
	v_fma_f64 v[56:57], v[130:131], s[20:21], -v[144:145]
	v_mul_f64 v[136:137], v[174:175], s[34:35]
	v_add_f64 v[54:55], v[56:57], v[54:55]
	v_fma_f64 v[56:57], s[28:29], v[120:121], v[136:137]
	v_mul_f64 v[150:151], v[152:153], s[34:35]
	s_mov_b32 s43, 0x3fefc445
	s_mov_b32 s42, s22
	v_add_f64 v[52:53], v[56:57], v[52:53]
	v_fma_f64 v[56:57], v[132:133], s[28:29], -v[150:151]
	v_mul_f64 v[142:143], v[204:205], s[42:43]
	v_add_f64 v[54:55], v[56:57], v[54:55]
	v_fma_f64 v[56:57], s[10:11], v[146:147], v[142:143]
	v_mul_f64 v[160:161], v[178:179], s[42:43]
	s_mov_b32 s41, 0x3fddbe06
	s_mov_b32 s40, s26
	v_add_f64 v[52:53], v[56:57], v[52:53]
	v_fma_f64 v[56:57], v[148:149], s[10:11], -v[160:161]
	v_mul_f64 v[154:155], v[216:217], s[40:41]
	v_add_f64 v[54:55], v[56:57], v[54:55]
	v_fma_f64 v[56:57], s[0:1], v[156:157], v[154:155]
	v_mul_f64 v[164:165], v[208:209], s[40:41]
	v_add_f64 v[72:73], v[56:57], v[52:53]
	v_fma_f64 v[52:53], v[162:163], s[0:1], -v[164:165]
	v_mul_f64 v[168:169], v[80:81], s[22:23]
	v_add_f64 v[74:75], v[52:53], v[54:55]
	v_fma_f64 v[52:53], s[10:11], v[92:93], v[168:169]
	v_mul_f64 v[172:173], v[122:123], s[36:37]
	v_add_f64 v[52:53], v[0:1], v[52:53]
	v_fma_f64 v[54:55], s[20:21], v[104:105], v[172:173]
	v_mul_f64 v[184:185], v[100:101], s[22:23]
	v_add_f64 v[52:53], v[54:55], v[52:53]
	v_fma_f64 v[54:55], v[82:83], s[10:11], -v[184:185]
	v_mul_f64 v[190:191], v[110:111], s[36:37]
	s_mov_b32 s45, 0x3fedeba7
	s_mov_b32 s44, s24
	v_add_f64 v[54:55], v[2:3], v[54:55]
	v_fma_f64 v[56:57], v[138:139], s[20:21], -v[190:191]
	v_mul_f64 v[182:183], v[158:159], s[44:45]
	v_add_f64 v[54:55], v[56:57], v[54:55]
	v_fma_f64 v[56:57], s[16:17], v[112:113], v[182:183]
	v_mul_f64 v[196:197], v[126:127], s[44:45]
	v_add_f64 v[52:53], v[56:57], v[52:53]
	v_fma_f64 v[56:57], v[130:131], s[16:17], -v[196:197]
	v_mul_f64 v[188:189], v[174:175], s[40:41]
	v_add_f64 v[54:55], v[56:57], v[54:55]
	v_fma_f64 v[56:57], s[0:1], v[120:121], v[188:189]
	v_mul_f64 v[202:203], v[152:153], s[40:41]
	;; [unrolled: 6-line block ×4, first 2 shown]
	v_add_f64 v[76:77], v[56:57], v[52:53]
	v_fma_f64 v[52:53], v[162:163], s[28:29], -v[212:213]
	v_add_f64 v[78:79], v[52:53], v[54:55]
	v_mul_lo_u16_e32 v52, 13, v176
	v_accvgpr_write_b32 a3, v52
	s_barrier
	s_and_saveexec_b64 s[18:19], s[4:5]
	s_cbranch_execz .LBB0_7
; %bb.6:
	v_mul_f64 v[224:225], v[82:83], s[20:21]
	s_mov_b32 s47, 0x3fcea1e5
	s_mov_b32 s46, s36
	v_mul_f64 v[220:221], v[138:139], s[0:1]
	v_fma_f64 v[226:227], s[46:47], v[100:101], v[224:225]
	v_mul_f64 v[238:239], v[80:81], s[36:37]
	v_mul_f64 v[64:65], v[130:131], s[28:29]
	v_fma_f64 v[222:223], s[26:27], v[110:111], v[220:221]
	v_add_f64 v[226:227], v[2:3], v[226:227]
	v_mul_f64 v[234:235], v[122:123], s[40:41]
	v_fma_f64 v[240:241], s[20:21], v[92:93], v[238:239]
	v_mul_f64 v[60:61], v[132:133], s[8:9]
	v_fma_f64 v[66:67], s[34:35], v[126:127], v[64:65]
	v_add_f64 v[222:223], v[222:223], v[226:227]
	s_mov_b32 s49, 0x3fea55e2
	s_mov_b32 s48, s30
	v_mul_f64 v[230:231], v[158:159], s[38:39]
	v_fma_f64 v[236:237], s[0:1], v[104:105], v[234:235]
	v_add_f64 v[240:241], v[0:1], v[240:241]
	v_mul_f64 v[58:59], v[148:149], s[16:17]
	v_fma_f64 v[62:63], s[30:31], v[152:153], v[60:61]
	v_add_f64 v[66:67], v[66:67], v[222:223]
	;; [unrolled: 3-line block ×5, first 2 shown]
	v_fma_f64 v[52:53], s[22:23], v[208:209], v[56:57]
	v_add_f64 v[54:55], v[54:55], v[62:63]
	v_mul_f64 v[62:63], v[216:217], s[42:43]
	v_fma_f64 v[222:223], s[16:17], v[146:147], v[66:67]
	v_add_f64 v[228:229], v[228:229], v[232:233]
	v_add_f64 v[54:55], v[52:53], v[54:55]
	v_fma_f64 v[52:53], s[10:11], v[156:157], v[62:63]
	v_add_f64 v[222:223], v[222:223], v[228:229]
	v_fmac_f64_e32 v[224:225], s[36:37], v[100:101]
	v_add_f64 v[52:53], v[52:53], v[222:223]
	v_fmac_f64_e32 v[220:221], s[40:41], v[110:111]
	;; [unrolled: 2-line block ×5, first 2 shown]
	v_add_f64 v[60:61], v[60:61], v[64:65]
	v_fma_f64 v[220:221], v[92:93], s[20:21], -v[238:239]
	v_mul_f64 v[232:233], v[82:83], s[28:29]
	v_add_f64 v[58:59], v[58:59], v[60:61]
	v_fma_f64 v[60:61], v[146:147], s[16:17], -v[66:67]
	v_fma_f64 v[66:67], v[104:105], s[0:1], -v[234:235]
	v_add_f64 v[220:221], v[0:1], v[220:221]
	v_mul_f64 v[228:229], v[138:139], s[10:11]
	v_fma_f64 v[234:235], s[34:35], v[100:101], v[232:233]
	v_fmac_f64_e32 v[56:57], s[42:43], v[208:209]
	v_fma_f64 v[64:65], v[112:113], s[28:29], -v[230:231]
	v_add_f64 v[66:67], v[66:67], v[220:221]
	v_mul_f64 v[224:225], v[130:131], s[8:9]
	v_fma_f64 v[230:231], s[22:23], v[110:111], v[228:229]
	v_add_f64 v[234:235], v[2:3], v[234:235]
	v_add_f64 v[58:59], v[56:57], v[58:59]
	v_fma_f64 v[56:57], v[156:157], s[10:11], -v[62:63]
	v_fma_f64 v[62:63], v[120:121], s[8:9], -v[226:227]
	v_add_f64 v[64:65], v[64:65], v[66:67]
	v_mul_f64 v[220:221], v[132:133], s[20:21]
	v_fma_f64 v[226:227], s[48:49], v[126:127], v[224:225]
	v_add_f64 v[230:231], v[230:231], v[234:235]
	v_add_f64 v[62:63], v[62:63], v[64:65]
	v_mul_f64 v[66:67], v[148:149], s[0:1]
	v_fma_f64 v[222:223], s[36:37], v[152:153], v[220:221]
	v_add_f64 v[226:227], v[226:227], v[230:231]
	;; [unrolled: 4-line block ×3, first 2 shown]
	v_mul_f64 v[238:239], v[80:81], s[38:39]
	v_fmac_f64_e32 v[232:233], s[38:39], v[100:101]
	v_add_f64 v[56:57], v[56:57], v[60:61]
	v_fma_f64 v[60:61], s[44:45], v[208:209], v[64:65]
	v_add_f64 v[62:63], v[62:63], v[222:223]
	v_mul_f64 v[236:237], v[122:123], s[42:43]
	v_fma_f64 v[240:241], s[28:29], v[92:93], v[238:239]
	v_fmac_f64_e32 v[228:229], s[42:43], v[110:111]
	v_add_f64 v[232:233], v[2:3], v[232:233]
	v_add_f64 v[62:63], v[60:61], v[62:63]
	v_mul_f64 v[234:235], v[158:159], s[30:31]
	v_fma_f64 v[60:61], s[10:11], v[104:105], v[236:237]
	v_add_f64 v[240:241], v[0:1], v[240:241]
	v_add_f64 v[228:229], v[228:229], v[232:233]
	v_fmac_f64_e32 v[224:225], s[30:31], v[126:127]
	v_mul_f64 v[230:231], v[174:175], s[46:47]
	v_add_f64 v[60:61], v[60:61], v[240:241]
	v_fma_f64 v[240:241], s[8:9], v[112:113], v[234:235]
	v_add_f64 v[224:225], v[224:225], v[228:229]
	v_fmac_f64_e32 v[220:221], s[46:47], v[152:153]
	v_mul_f64 v[226:227], v[204:205], s[40:41]
	v_add_f64 v[60:61], v[240:241], v[60:61]
	v_fma_f64 v[240:241], s[20:21], v[120:121], v[230:231]
	v_add_f64 v[220:221], v[220:221], v[224:225]
	v_fmac_f64_e32 v[66:67], s[40:41], v[178:179]
	v_mul_f64 v[222:223], v[216:217], s[24:25]
	v_add_f64 v[60:61], v[240:241], v[60:61]
	v_fma_f64 v[240:241], s[0:1], v[146:147], v[226:227]
	v_fmac_f64_e32 v[64:65], s[24:25], v[208:209]
	v_add_f64 v[66:67], v[66:67], v[220:221]
	v_add_f64 v[60:61], v[240:241], v[60:61]
	v_fma_f64 v[240:241], s[16:17], v[156:157], v[222:223]
	v_add_f64 v[66:67], v[64:65], v[66:67]
	v_fma_f64 v[64:65], v[156:157], s[16:17], -v[222:223]
	v_fma_f64 v[222:223], v[120:121], s[20:21], -v[230:231]
	;; [unrolled: 1-line block ×3, first 2 shown]
	v_mul_f64 v[238:239], v[82:83], s[16:17]
	v_mov_b64_e32 v[248:249], v[176:177]
	v_mul_f64 v[176:177], v[82:83], s[0:1]
	v_mul_f64 v[200:201], v[82:83], s[8:9]
	v_mov_b32_e32 v252, v214
	v_mul_f64 v[214:215], v[82:83], s[10:11]
	v_mov_b32_e32 v250, v180
	v_mul_f64 v[180:181], v[138:139], s[8:9]
	v_add_f64 v[60:61], v[240:241], v[60:61]
	v_mul_f64 v[240:241], v[138:139], s[16:17]
	v_mul_f64 v[232:233], v[138:139], s[20:21]
	v_fma_f64 v[220:221], v[146:147], s[0:1], -v[226:227]
	v_fma_f64 v[226:227], v[104:105], s[10:11], -v[236:237]
	v_add_f64 v[230:231], v[0:1], v[230:231]
	v_mul_f64 v[138:139], v[138:139], s[28:29]
	v_fma_f64 v[82:83], s[44:45], v[100:101], v[238:239]
	v_fma_f64 v[224:225], v[112:113], s[8:9], -v[234:235]
	v_add_f64 v[226:227], v[226:227], v[230:231]
	v_mul_f64 v[234:235], v[130:131], s[0:1]
	v_fma_f64 v[236:237], s[38:39], v[110:111], v[138:139]
	v_add_f64 v[82:83], v[2:3], v[82:83]
	v_add_f64 v[224:225], v[224:225], v[226:227]
	v_mul_f64 v[230:231], v[132:133], s[10:11]
	v_add_f64 v[82:83], v[236:237], v[82:83]
	v_fma_f64 v[236:237], s[26:27], v[126:127], v[234:235]
	v_add_f64 v[222:223], v[222:223], v[224:225]
	v_mul_f64 v[224:225], v[148:149], s[20:21]
	v_add_f64 v[82:83], v[236:237], v[82:83]
	v_fma_f64 v[236:237], s[42:43], v[152:153], v[230:231]
	v_add_f64 v[220:221], v[220:221], v[222:223]
	v_fma_f64 v[226:227], s[36:37], v[178:179], v[224:225]
	v_add_f64 v[82:83], v[236:237], v[82:83]
	v_add_f64 v[64:65], v[64:65], v[220:221]
	v_mul_f64 v[220:221], v[162:163], s[8:9]
	v_add_f64 v[82:83], v[226:227], v[82:83]
	v_mul_f64 v[226:227], v[80:81], s[24:25]
	v_mul_f64 v[166:167], v[92:93], s[0:1]
	;; [unrolled: 1-line block ×4, first 2 shown]
	v_fma_f64 v[222:223], s[30:31], v[208:209], v[220:221]
	v_mul_f64 v[122:123], v[122:123], s[34:35]
	v_fma_f64 v[80:81], s[16:17], v[92:93], v[226:227]
	v_fmac_f64_e32 v[238:239], s[24:25], v[100:101]
	v_fma_f64 v[92:93], v[92:93], s[16:17], -v[226:227]
	v_mul_f64 v[170:171], v[104:105], s[8:9]
	v_mul_f64 v[192:193], v[104:105], s[16:17]
	;; [unrolled: 1-line block ×3, first 2 shown]
	v_add_f64 v[82:83], v[222:223], v[82:83]
	v_mul_f64 v[158:159], v[158:159], s[40:41]
	v_fma_f64 v[222:223], s[28:29], v[104:105], v[122:123]
	v_add_f64 v[80:81], v[0:1], v[80:81]
	v_fmac_f64_e32 v[138:139], s[34:35], v[110:111]
	v_add_f64 v[110:111], v[2:3], v[238:239]
	v_fma_f64 v[104:105], v[104:105], s[28:29], -v[122:123]
	v_add_f64 v[92:93], v[0:1], v[92:93]
	v_mul_f64 v[174:175], v[174:175], s[22:23]
	v_add_f64 v[80:81], v[222:223], v[80:81]
	v_fma_f64 v[222:223], s[0:1], v[112:113], v[158:159]
	v_fmac_f64_e32 v[234:235], s[40:41], v[126:127]
	v_add_f64 v[110:111], v[138:139], v[110:111]
	v_fma_f64 v[158:159], v[112:113], s[0:1], -v[158:159]
	v_add_f64 v[92:93], v[104:105], v[92:93]
	v_mul_f64 v[204:205], v[204:205], s[46:47]
	v_add_f64 v[80:81], v[222:223], v[80:81]
	v_fma_f64 v[222:223], s[10:11], v[120:121], v[174:175]
	v_fmac_f64_e32 v[230:231], s[22:23], v[152:153]
	v_mul_f64 v[152:153], v[120:121], s[16:17]
	v_mul_f64 v[246:247], v[120:121], s[28:29]
	;; [unrolled: 1-line block ×3, first 2 shown]
	v_add_f64 v[110:111], v[234:235], v[110:111]
	v_fma_f64 v[120:121], v[120:121], s[10:11], -v[174:175]
	v_add_f64 v[92:93], v[158:159], v[92:93]
	v_mul_f64 v[216:217], v[216:217], s[48:49]
	v_add_f64 v[80:81], v[222:223], v[80:81]
	v_fma_f64 v[222:223], s[20:21], v[146:147], v[204:205]
	v_fmac_f64_e32 v[224:225], s[46:47], v[178:179]
	v_add_f64 v[110:111], v[230:231], v[110:111]
	v_mul_f64 v[230:231], v[148:149], s[28:29]
	v_mul_f64 v[174:175], v[148:149], s[10:11]
	v_fma_f64 v[204:205], v[146:147], s[20:21], -v[204:205]
	v_mul_f64 v[148:149], v[148:149], s[8:9]
	v_add_f64 v[92:93], v[120:121], v[92:93]
	v_add_f64 v[80:81], v[222:223], v[80:81]
	v_fma_f64 v[222:223], s[8:9], v[156:157], v[216:217]
	v_fmac_f64_e32 v[220:221], s[48:49], v[208:209]
	v_mul_f64 v[244:245], v[132:133], s[16:17]
	v_mul_f64 v[100:101], v[132:133], s[28:29]
	;; [unrolled: 1-line block ×3, first 2 shown]
	v_add_f64 v[110:111], v[224:225], v[110:111]
	v_fma_f64 v[122:123], v[156:157], s[8:9], -v[216:217]
	v_add_f64 v[92:93], v[204:205], v[92:93]
	v_add_f64 v[120:121], v[206:207], v[148:149]
	;; [unrolled: 1-line block ×3, first 2 shown]
	v_mul_f64 v[228:229], v[112:113], s[10:11]
	v_add_f64 v[80:81], v[222:223], v[80:81]
	v_mul_f64 v[222:223], v[130:131], s[10:11]
	v_mul_f64 v[236:237], v[112:113], s[20:21]
	;; [unrolled: 1-line block ×5, first 2 shown]
	v_add_f64 v[112:113], v[220:221], v[110:111]
	v_add_f64 v[110:111], v[122:123], v[92:93]
	;; [unrolled: 1-line block ×8, first 2 shown]
	v_mul_f64 v[238:239], v[162:163], s[20:21]
	v_mul_f64 v[104:105], v[162:163], s[0:1]
	;; [unrolled: 1-line block ×3, first 2 shown]
	v_add_f64 v[122:123], v[122:123], v[130:131]
	v_mul_f64 v[138:139], v[146:147], s[28:29]
	v_mul_f64 v[224:225], v[146:147], s[10:11]
	;; [unrolled: 1-line block ×3, first 2 shown]
	v_add_f64 v[92:93], v[212:213], v[162:163]
	v_add_f64 v[120:121], v[120:121], v[122:123]
	;; [unrolled: 1-line block ×3, first 2 shown]
	v_add_f64 v[120:121], v[146:147], -v[194:195]
	v_add_f64 v[146:147], v[210:211], -v[168:169]
	;; [unrolled: 1-line block ×3, first 2 shown]
	v_add_f64 v[146:147], v[0:1], v[146:147]
	v_add_f64 v[130:131], v[178:179], -v[182:183]
	v_add_f64 v[132:133], v[132:133], v[146:147]
	v_add_f64 v[130:131], v[130:131], v[132:133]
	;; [unrolled: 1-line block ×3, first 2 shown]
	v_add_f64 v[118:119], v[186:187], -v[118:119]
	v_add_f64 v[86:87], v[86:87], v[176:177]
	v_add_f64 v[84:85], v[166:167], -v[84:85]
	v_add_f64 v[126:127], v[126:127], -v[188:189]
	v_add_f64 v[132:133], v[2:3], v[132:133]
	v_add_f64 v[118:119], v[0:1], v[118:119]
	;; [unrolled: 1-line block ×10, first 2 shown]
	v_mul_f64 v[234:235], v[156:157], s[20:21]
	v_mul_f64 v[226:227], v[156:157], s[0:1]
	;; [unrolled: 1-line block ×3, first 2 shown]
	v_add_f64 v[120:121], v[120:121], v[126:127]
	v_add_f64 v[126:127], v[144:145], v[208:209]
	v_add_f64 v[130:131], v[130:131], v[132:133]
	v_add_f64 v[2:3], v[2:3], v[14:15]
	v_add_f64 v[0:1], v[0:1], v[12:13]
	v_add_f64 v[92:93], v[156:157], -v[198:199]
	v_add_f64 v[100:101], v[150:151], v[100:101]
	v_add_f64 v[126:127], v[126:127], v[130:131]
	v_add_f64 v[124:125], v[192:193], -v[124:125]
	v_add_f64 v[2:3], v[2:3], v[18:19]
	v_add_f64 v[0:1], v[0:1], v[16:17]
	;; [unrolled: 1-line block ×6, first 2 shown]
	v_add_f64 v[128:129], v[236:237], -v[128:129]
	v_add_f64 v[118:119], v[124:125], v[118:119]
	v_add_f64 v[2:3], v[2:3], v[22:23]
	v_add_f64 v[0:1], v[0:1], v[20:21]
	v_add_f64 v[100:101], v[104:105], v[100:101]
	v_add_f64 v[104:105], v[246:247], -v[136:137]
	v_add_f64 v[118:119], v[128:129], v[118:119]
	v_add_f64 v[90:91], v[90:91], v[180:181]
	v_add_f64 v[2:3], v[2:3], v[26:27]
	v_add_f64 v[0:1], v[0:1], v[24:25]
	v_add_f64 v[126:127], v[92:93], v[100:101]
	v_add_f64 v[100:101], v[224:225], -v[142:143]
	v_add_f64 v[104:105], v[104:105], v[118:119]
	;; [unrolled: 6-line block ×3, first 2 shown]
	v_add_f64 v[102:103], v[102:103], v[244:245]
	v_add_f64 v[86:87], v[96:97], v[86:87]
	v_add_f64 v[88:89], v[170:171], -v[88:89]
	v_add_f64 v[2:3], v[2:3], v[34:35]
	v_add_f64 v[0:1], v[0:1], v[32:33]
	v_add_f64 v[124:125], v[92:93], v[100:101]
	v_add_f64 v[100:101], v[108:109], v[230:231]
	v_add_f64 v[86:87], v[102:103], v[86:87]
	v_add_f64 v[94:95], v[228:229], -v[94:95]
	v_add_f64 v[84:85], v[88:89], v[84:85]
	v_add_f64 v[2:3], v[2:3], v[38:39]
	v_add_f64 v[0:1], v[0:1], v[36:37]
	v_add_f64 v[92:93], v[116:117], v[238:239]
	v_add_f64 v[86:87], v[100:101], v[86:87]
	v_add_f64 v[96:97], v[152:153], -v[98:99]
	v_add_f64 v[84:85], v[94:95], v[84:85]
	v_add_f64 v[2:3], v[2:3], v[42:43]
	v_add_f64 v[0:1], v[0:1], v[40:41]
	v_add_f64 v[86:87], v[92:93], v[86:87]
	v_add_f64 v[92:93], v[138:139], -v[106:107]
	v_add_f64 v[84:85], v[96:97], v[84:85]
	v_add_f64 v[2:3], v[2:3], v[46:47]
	;; [unrolled: 1-line block ×3, first 2 shown]
	v_accvgpr_read_b32 v4, a3
	v_mov_b32_e32 v214, v252
	v_mov_b32_e32 v180, v250
	v_mov_b64_e32 v[176:177], v[248:249]
	v_add_f64 v[90:91], v[234:235], -v[114:115]
	v_add_f64 v[84:85], v[92:93], v[84:85]
	v_add_f64 v[2:3], v[2:3], v[50:51]
	;; [unrolled: 1-line block ×3, first 2 shown]
	v_add_lshl_u32 v4, v218, v4, 4
	v_add_f64 v[84:85], v[90:91], v[84:85]
	ds_write_b128 v4, v[0:3]
	ds_write_b128 v4, v[84:87] offset:16
	ds_write_b128 v4, v[124:127] offset:32
	;; [unrolled: 1-line block ×12, first 2 shown]
.LBB0_7:
	s_or_b64 exec, exec, s[18:19]
	s_mov_b64 s[0:1], 0x5b
	v_lshl_add_u64 v[124:125], v[176:177], 0, s[0:1]
	s_mov_b64 s[0:1], 0xb6
	v_lshl_add_u64 v[2:3], v[176:177], 0, s[0:1]
	;; [unrolled: 2-line block ×4, first 2 shown]
	s_movk_i32 s0, 0x4f
	v_mul_lo_u16_sdwa v1, v176, s0 dst_sel:DWORD dst_unused:UNUSED_PAD src0_sel:BYTE_0 src1_sel:DWORD
	v_lshrrev_b16_e32 v24, 10, v1
	v_mul_lo_u16_e32 v0, 13, v24
	v_sub_u16_e32 v25, v176, v0
	v_mul_lo_u16_sdwa v0, v124, s0 dst_sel:DWORD dst_unused:UNUSED_PAD src0_sel:BYTE_0 src1_sel:DWORD
	v_lshrrev_b16_e32 v26, 10, v0
	v_mul_lo_u16_e32 v7, 13, v26
	v_mov_b32_e32 v3, 4
	v_sub_u16_e32 v27, v124, v7
	v_lshlrev_b32_sdwa v5, v3, v25 dst_sel:DWORD dst_unused:UNUSED_PAD src0_sel:DWORD src1_sel:BYTE_0
	v_lshlrev_b32_sdwa v3, v3, v27 dst_sel:DWORD dst_unused:UNUSED_PAD src0_sel:DWORD src1_sel:BYTE_0
	s_movk_i32 s0, 0x4ec5
	s_load_dwordx4 s[8:11], s[2:3], 0x0
	s_waitcnt lgkmcnt(0)
	s_barrier
	global_load_dwordx4 v[80:83], v5, s[6:7]
	global_load_dwordx4 v[92:95], v3, s[6:7]
	v_mul_u32_u24_sdwa v3, v2, s0 dst_sel:DWORD dst_unused:UNUSED_PAD src0_sel:WORD_0 src1_sel:DWORD
	v_lshrrev_b32_e32 v28, 18, v3
	v_mul_lo_u16_e32 v3, 13, v28
	v_sub_u16_e32 v29, v2, v3
	v_mul_u32_u24_sdwa v3, v4, s0 dst_sel:DWORD dst_unused:UNUSED_PAD src0_sel:WORD_0 src1_sel:DWORD
	v_lshrrev_b32_e32 v30, 18, v3
	v_mul_lo_u16_e32 v3, 13, v30
	v_lshlrev_b32_e32 v2, 4, v29
	v_sub_u16_e32 v31, v4, v3
	v_lshlrev_b32_e32 v3, 4, v31
	global_load_dwordx4 v[34:37], v2, s[6:7]
	global_load_dwordx4 v[96:99], v3, s[6:7]
	v_mul_u32_u24_sdwa v2, v6, s0 dst_sel:DWORD dst_unused:UNUSED_PAD src0_sel:WORD_0 src1_sel:DWORD
	v_lshrrev_b32_e32 v32, 18, v2
	v_mul_lo_u16_e32 v2, 13, v32
	v_sub_u16_e32 v33, v6, v2
	v_lshlrev_b32_e32 v2, 4, v33
	global_load_dwordx4 v[38:41], v2, s[6:7]
	v_add_lshl_u32 v212, v218, v176, 4
	ds_read_b128 v[2:5], v212 offset:7280
	ds_read_b128 v[6:9], v212
	ds_read_b128 v[10:13], v212 offset:1456
	ds_read_b128 v[14:17], v212 offset:8736
	;; [unrolled: 1-line block ×8, first 2 shown]
	s_waitcnt lgkmcnt(0)
	s_barrier
	v_cmp_gt_u16_e64 s[2:3], 39, v176
                                        ; implicit-def: $vgpr120_vgpr121
	s_waitcnt vmcnt(4)
	v_mul_f64 v[22:23], v[4:5], v[82:83]
	v_mul_f64 v[64:65], v[2:3], v[82:83]
	v_fma_f64 v[2:3], v[2:3], v[80:81], -v[22:23]
	s_waitcnt vmcnt(3)
	v_mul_f64 v[22:23], v[14:15], v[94:95]
	v_fmac_f64_e32 v[22:23], v[16:17], v[92:93]
	v_fmac_f64_e32 v[64:65], v[4:5], v[80:81]
	v_mul_f64 v[4:5], v[16:17], v[94:95]
	v_add_f64 v[16:17], v[12:13], -v[22:23]
	v_mul_u32_u24_e32 v22, 26, v24
	v_fma_f64 v[14:15], v[14:15], v[92:93], -v[4:5]
	v_add_f64 v[2:3], v[6:7], -v[2:3]
	v_add_f64 v[4:5], v[8:9], -v[64:65]
	v_add_u32_sdwa v22, v22, v25 dst_sel:DWORD dst_unused:UNUSED_PAD src0_sel:DWORD src1_sel:BYTE_0
	v_fma_f64 v[6:7], v[6:7], 2.0, -v[2:3]
	v_fma_f64 v[8:9], v[8:9], 2.0, -v[4:5]
	v_add_lshl_u32 v179, v218, v22, 4
	ds_write_b128 v179, v[6:9]
	ds_write_b128 v179, v[2:5] offset:208
	v_mul_u32_u24_e32 v2, 26, v26
	v_accvgpr_write_b32 a36, v80
	v_add_u32_sdwa v2, v2, v27 dst_sel:DWORD dst_unused:UNUSED_PAD src0_sel:DWORD src1_sel:BYTE_0
	v_accvgpr_write_b32 a37, v81
	v_accvgpr_write_b32 a38, v82
	;; [unrolled: 1-line block ×3, first 2 shown]
	s_waitcnt vmcnt(2)
	v_mul_f64 v[66:67], v[20:21], v[36:37]
	v_mul_f64 v[80:81], v[18:19], v[36:37]
	s_waitcnt vmcnt(1)
	v_mul_f64 v[82:83], v[58:59], v[98:99]
	v_mul_f64 v[84:85], v[56:57], v[98:99]
	;; [unrolled: 3-line block ×3, first 2 shown]
	v_add_lshl_u32 v181, v218, v2, 4
	v_mad_legacy_u16 v2, v28, 26, v29
	v_fma_f64 v[18:19], v[18:19], v[34:35], -v[66:67]
	v_fmac_f64_e32 v[80:81], v[20:21], v[34:35]
	v_fma_f64 v[56:57], v[56:57], v[96:97], -v[82:83]
	v_fmac_f64_e32 v[84:85], v[58:59], v[96:97]
	;; [unrolled: 2-line block ×3, first 2 shown]
	v_add_lshl_u32 v182, v218, v2, 4
	v_mad_legacy_u16 v2, v30, 26, v31
	v_add_f64 v[14:15], v[10:11], -v[14:15]
	v_add_f64 v[18:19], v[44:45], -v[18:19]
	;; [unrolled: 1-line block ×7, first 2 shown]
	v_add_lshl_u32 v183, v218, v2, 4
	v_mad_legacy_u16 v2, v32, 26, v33
	v_accvgpr_write_b32 a32, v92
	v_accvgpr_write_b32 a40, v96
	v_fma_f64 v[10:11], v[10:11], 2.0, -v[14:15]
	v_fma_f64 v[12:13], v[12:13], 2.0, -v[16:17]
	;; [unrolled: 1-line block ×8, first 2 shown]
	v_add_lshl_u32 v216, v218, v2, 4
	v_accvgpr_write_b32 a33, v93
	v_accvgpr_write_b32 a34, v94
	;; [unrolled: 1-line block ×6, first 2 shown]
	ds_write_b128 v181, v[10:13]
	ds_write_b128 v181, v[14:17] offset:208
	ds_write_b128 v182, v[44:47]
	ds_write_b128 v182, v[18:21] offset:208
	;; [unrolled: 2-line block ×4, first 2 shown]
	s_waitcnt lgkmcnt(0)
	s_barrier
	ds_read_b128 v[92:95], v212
	ds_read_b128 v[116:119], v212 offset:2080
	ds_read_b128 v[112:115], v212 offset:4160
	;; [unrolled: 1-line block ×6, first 2 shown]
	s_and_saveexec_b64 s[0:1], s[2:3]
	s_cbranch_execz .LBB0_9
; %bb.8:
	ds_read_b128 v[80:83], v212 offset:1456
	ds_read_b128 v[84:87], v212 offset:3536
	ds_read_b128 v[88:91], v212 offset:5616
	ds_read_b128 v[76:79], v212 offset:7696
	ds_read_b128 v[72:75], v212 offset:9776
	ds_read_b128 v[68:71], v212 offset:11856
	ds_read_b128 v[120:123], v212 offset:13936
.LBB0_9:
	s_or_b64 exec, exec, s[0:1]
	v_lshrrev_b16_e32 v24, 11, v1
	v_mul_lo_u16_e32 v1, 26, v24
	v_sub_u16_e32 v1, v176, v1
	v_and_b32_e32 v25, 0xff, v1
	s_movk_i32 s16, 0x60
	v_mov_b64_e32 v[2:3], s[6:7]
	v_lshrrev_b16_e32 v177, 11, v0
	v_mad_u64_u32 v[4:5], s[0:1], v25, s16, v[2:3]
	v_mul_lo_u16_e32 v0, 26, v177
	global_load_dwordx4 v[56:59], v[4:5], off offset:208
	global_load_dwordx4 v[52:55], v[4:5], off offset:224
	;; [unrolled: 1-line block ×6, first 2 shown]
	v_sub_u16_e32 v0, v124, v0
	v_and_b32_e32 v178, 0xff, v0
	v_mad_u64_u32 v[0:1], s[0:1], v178, s16, v[2:3]
	global_load_dwordx4 v[30:33], v[0:1], off offset:208
	global_load_dwordx4 v[26:29], v[0:1], off offset:224
	;; [unrolled: 1-line block ×6, first 2 shown]
	s_mov_b32 s16, 0x37e14327
	s_mov_b32 s0, 0x36b3c0b5
	;; [unrolled: 1-line block ×20, first 2 shown]
	v_mul_u32_u24_e32 v24, 0xb6, v24
	v_add_u32_e32 v24, v24, v25
	v_add_lshl_u32 v217, v218, v24, 4
	s_waitcnt lgkmcnt(0)
	s_barrier
	s_waitcnt vmcnt(11)
	v_mul_f64 v[0:1], v[118:119], v[58:59]
	s_waitcnt vmcnt(10)
	v_mul_f64 v[4:5], v[114:115], v[54:55]
	v_mul_f64 v[2:3], v[116:117], v[58:59]
	;; [unrolled: 1-line block ×3, first 2 shown]
	s_waitcnt vmcnt(7)
	v_mul_f64 v[20:21], v[98:99], v[62:63]
	s_waitcnt vmcnt(6)
	v_mul_f64 v[16:17], v[102:103], v[66:67]
	v_mul_f64 v[8:9], v[110:111], v[50:51]
	v_mul_f64 v[12:13], v[106:107], v[46:47]
	v_mul_f64 v[18:19], v[100:101], v[66:67]
	v_mul_f64 v[22:23], v[96:97], v[62:63]
	s_waitcnt vmcnt(2)
	v_mul_f64 v[138:139], v[74:75], v[222:223]
	v_fma_f64 v[0:1], v[116:117], v[56:57], -v[0:1]
	v_fma_f64 v[4:5], v[112:113], v[52:53], -v[4:5]
	v_fma_f64 v[16:17], v[100:101], v[64:65], -v[16:17]
	v_fma_f64 v[20:21], v[96:97], v[60:61], -v[20:21]
	v_mul_f64 v[10:11], v[108:109], v[50:51]
	v_mul_f64 v[14:15], v[104:105], v[46:47]
	;; [unrolled: 1-line block ×3, first 2 shown]
	v_fmac_f64_e32 v[2:3], v[118:119], v[56:57]
	v_fmac_f64_e32 v[6:7], v[114:115], v[52:53]
	v_fma_f64 v[8:9], v[108:109], v[48:49], -v[8:9]
	v_fma_f64 v[12:13], v[104:105], v[44:45], -v[12:13]
	v_fmac_f64_e32 v[18:19], v[102:103], v[64:65]
	v_fmac_f64_e32 v[22:23], v[98:99], v[60:61]
	v_fma_f64 v[102:103], v[72:73], v[220:221], -v[138:139]
	v_add_f64 v[72:73], v[0:1], v[20:21]
	v_add_f64 v[0:1], v[0:1], -v[20:21]
	v_add_f64 v[20:21], v[4:5], v[16:17]
	v_fmac_f64_e32 v[10:11], v[110:111], v[48:49]
	v_fmac_f64_e32 v[14:15], v[106:107], v[44:45]
	v_fmac_f64_e32 v[140:141], v[74:75], v[220:221]
	v_add_f64 v[74:75], v[2:3], v[22:23]
	v_add_f64 v[2:3], v[2:3], -v[22:23]
	v_add_f64 v[22:23], v[6:7], v[18:19]
	v_add_f64 v[4:5], v[4:5], -v[16:17]
	;; [unrolled: 2-line block ×3, first 2 shown]
	v_add_f64 v[12:13], v[20:21], v[72:73]
	v_mul_f64 v[134:135], v[78:79], v[228:229]
	v_add_f64 v[6:7], v[6:7], -v[18:19]
	v_add_f64 v[18:19], v[10:11], v[14:15]
	v_add_f64 v[10:11], v[14:15], -v[10:11]
	v_add_f64 v[14:15], v[22:23], v[74:75]
	v_add_f64 v[12:13], v[16:17], v[12:13]
	v_mul_f64 v[126:127], v[86:87], v[32:33]
	v_mul_f64 v[128:129], v[84:85], v[32:33]
	;; [unrolled: 1-line block ×5, first 2 shown]
	v_fma_f64 v[100:101], v[76:77], v[226:227], -v[134:135]
	v_add_f64 v[76:77], v[20:21], -v[72:73]
	v_add_f64 v[72:73], v[72:73], -v[16:17]
	;; [unrolled: 1-line block ×3, first 2 shown]
	v_add_f64 v[14:15], v[18:19], v[14:15]
	v_add_f64 v[16:17], v[92:93], v[12:13]
	v_fma_f64 v[96:97], v[84:85], v[30:31], -v[126:127]
	v_fmac_f64_e32 v[128:129], v[86:87], v[30:31]
	v_fma_f64 v[98:99], v[88:89], v[26:27], -v[130:131]
	v_fmac_f64_e32 v[132:133], v[90:91], v[26:27]
	v_fmac_f64_e32 v[136:137], v[78:79], v[226:227]
	v_add_f64 v[78:79], v[22:23], -v[74:75]
	v_add_f64 v[74:75], v[74:75], -v[18:19]
	v_add_f64 v[22:23], v[18:19], -v[22:23]
	v_add_f64 v[84:85], v[8:9], v[4:5]
	v_add_f64 v[86:87], v[10:11], v[6:7]
	v_add_f64 v[88:89], v[8:9], -v[4:5]
	v_add_f64 v[90:91], v[10:11], -v[6:7]
	;; [unrolled: 1-line block ×4, first 2 shown]
	v_add_f64 v[18:19], v[94:95], v[14:15]
	v_mov_b64_e32 v[104:105], v[16:17]
	v_add_f64 v[8:9], v[0:1], -v[8:9]
	v_add_f64 v[10:11], v[2:3], -v[10:11]
	v_add_f64 v[0:1], v[84:85], v[0:1]
	v_add_f64 v[2:3], v[86:87], v[2:3]
	v_mul_f64 v[72:73], v[72:73], s[16:17]
	v_mul_f64 v[74:75], v[74:75], s[16:17]
	;; [unrolled: 1-line block ×8, first 2 shown]
	v_fmac_f64_e32 v[104:105], s[22:23], v[12:13]
	v_mov_b64_e32 v[12:13], v[18:19]
	s_waitcnt vmcnt(1)
	v_mul_f64 v[142:143], v[70:71], v[152:153]
	v_mul_f64 v[144:145], v[68:69], v[152:153]
	s_waitcnt vmcnt(0)
	v_mul_f64 v[146:147], v[122:123], v[156:157]
	v_mul_f64 v[148:149], v[120:121], v[156:157]
	v_fmac_f64_e32 v[12:13], s[22:23], v[14:15]
	v_fma_f64 v[14:15], v[76:77], s[24:25], -v[84:85]
	v_fma_f64 v[84:85], v[78:79], s[24:25], -v[86:87]
	;; [unrolled: 1-line block ×3, first 2 shown]
	v_fmac_f64_e32 v[72:73], s[0:1], v[20:21]
	v_fma_f64 v[20:21], v[78:79], s[26:27], -v[74:75]
	v_fmac_f64_e32 v[74:75], s[0:1], v[22:23]
	v_fma_f64 v[4:5], v[4:5], s[18:19], -v[94:95]
	;; [unrolled: 2-line block ×4, first 2 shown]
	v_fma_f64 v[10:11], v[10:11], s[34:35], -v[90:91]
	v_fma_f64 v[68:69], v[68:69], v[150:151], -v[142:143]
	v_fmac_f64_e32 v[144:145], v[70:71], v[150:151]
	v_fma_f64 v[70:71], v[120:121], v[154:155], -v[146:147]
	v_fmac_f64_e32 v[148:149], v[122:123], v[154:155]
	v_add_f64 v[108:109], v[74:75], v[12:13]
	v_add_f64 v[86:87], v[84:85], v[12:13]
	;; [unrolled: 1-line block ×4, first 2 shown]
	v_fmac_f64_e32 v[8:9], s[30:31], v[0:1]
	v_fmac_f64_e32 v[10:11], s[30:31], v[2:3]
	v_add_f64 v[106:107], v[72:73], v[104:105]
	v_add_f64 v[14:15], v[14:15], v[104:105]
	v_fmac_f64_e32 v[94:95], s[30:31], v[0:1]
	v_fmac_f64_e32 v[92:93], s[30:31], v[2:3]
	v_fmac_f64_e32 v[4:5], s[30:31], v[0:1]
	v_fmac_f64_e32 v[6:7], s[30:31], v[2:3]
	v_add_f64 v[72:73], v[10:11], v[88:89]
	v_add_f64 v[74:75], v[12:13], -v[8:9]
	v_add_f64 v[88:89], v[88:89], -v[10:11]
	v_add_f64 v[90:91], v[8:9], v[12:13]
	v_add_f64 v[0:1], v[96:97], v[70:71]
	;; [unrolled: 1-line block ×5, first 2 shown]
	v_add_f64 v[76:77], v[14:15], -v[6:7]
	v_add_f64 v[78:79], v[4:5], v[86:87]
	v_add_f64 v[84:85], v[6:7], v[14:15]
	v_add_f64 v[86:87], v[86:87], -v[4:5]
	v_add_f64 v[4:5], v[96:97], -v[70:71]
	;; [unrolled: 1-line block ×4, first 2 shown]
	v_add_f64 v[68:69], v[100:101], v[102:103]
	v_add_f64 v[70:71], v[136:137], v[140:141]
	v_add_f64 v[96:97], v[102:103], -v[100:101]
	v_add_f64 v[98:99], v[140:141], -v[136:137]
	v_add_f64 v[100:101], v[8:9], v[0:1]
	v_add_f64 v[102:103], v[10:11], v[2:3]
	;; [unrolled: 1-line block ×3, first 2 shown]
	v_add_f64 v[92:93], v[106:107], -v[92:93]
	v_add_f64 v[6:7], v[128:129], -v[148:149]
	;; [unrolled: 1-line block ×7, first 2 shown]
	v_add_f64 v[110:111], v[98:99], v[14:15]
	v_add_f64 v[112:113], v[96:97], -v[12:13]
	v_add_f64 v[100:101], v[68:69], v[100:101]
	v_add_f64 v[102:103], v[70:71], v[102:103]
	v_add_f64 v[22:23], v[108:109], -v[94:95]
	v_add_f64 v[94:95], v[94:95], v[108:109]
	v_add_f64 v[0:1], v[0:1], -v[68:69]
	;; [unrolled: 2-line block ×3, first 2 shown]
	v_add_f64 v[96:97], v[4:5], -v[96:97]
	v_add_f64 v[98:99], v[6:7], -v[98:99]
	;; [unrolled: 1-line block ×3, first 2 shown]
	v_add_f64 v[110:111], v[110:111], v[6:7]
	v_add_f64 v[68:69], v[80:81], v[100:101]
	;; [unrolled: 1-line block ×3, first 2 shown]
	v_mul_f64 v[6:7], v[2:3], s[16:17]
	v_mul_f64 v[2:3], v[8:9], s[0:1]
	v_mul_f64 v[80:81], v[10:11], s[0:1]
	v_mul_f64 v[82:83], v[112:113], s[20:21]
	v_add_f64 v[12:13], v[12:13], -v[4:5]
	v_add_f64 v[108:109], v[108:109], v[4:5]
	v_mul_f64 v[4:5], v[0:1], s[16:17]
	v_mul_f64 v[0:1], v[114:115], s[20:21]
	v_fma_f64 v[102:103], s[22:23], v[102:103], v[70:71]
	v_fma_f64 v[118:119], v[104:105], s[24:25], -v[2:3]
	v_fma_f64 v[80:81], v[106:107], s[24:25], -v[80:81]
	;; [unrolled: 1-line block ×3, first 2 shown]
	v_fmac_f64_e32 v[6:7], s[0:1], v[10:11]
	v_fma_f64 v[2:3], s[28:29], v[96:97], v[82:83]
	v_accvgpr_write_b32 a16, v26
	v_mul_f64 v[112:113], v[12:13], s[18:19]
	v_mul_f64 v[114:115], v[14:15], s[18:19]
	v_fma_f64 v[100:101], s[22:23], v[100:101], v[68:69]
	v_fma_f64 v[116:117], s[0:1], v[8:9], v[4:5]
	v_fma_f64 v[120:121], v[14:15], s[18:19], -v[0:1]
	v_fmac_f64_e32 v[0:1], s[28:29], v[98:99]
	v_add_f64 v[6:7], v[6:7], v[102:103]
	v_fmac_f64_e32 v[2:3], s[30:31], v[108:109]
	v_accvgpr_write_b32 a17, v27
	v_accvgpr_write_b32 a18, v28
	v_accvgpr_write_b32 a19, v29
	v_fma_f64 v[104:105], v[104:105], s[26:27], -v[4:5]
	v_fma_f64 v[82:83], v[12:13], s[18:19], -v[82:83]
	;; [unrolled: 1-line block ×4, first 2 shown]
	v_add_f64 v[4:5], v[116:117], v[100:101]
	v_fmac_f64_e32 v[0:1], s[30:31], v[110:111]
	v_add_f64 v[28:29], v[2:3], v[6:7]
	v_accvgpr_write_b32 a20, v30
	v_accvgpr_write_b32 a24, v150
	;; [unrolled: 1-line block ×3, first 2 shown]
	v_add_f64 v[96:97], v[118:119], v[100:101]
	v_add_f64 v[80:81], v[80:81], v[102:103]
	;; [unrolled: 1-line block ×4, first 2 shown]
	v_fmac_f64_e32 v[82:83], s[30:31], v[108:109]
	v_fmac_f64_e32 v[120:121], s[30:31], v[110:111]
	;; [unrolled: 1-line block ×4, first 2 shown]
	v_add_f64 v[26:27], v[4:5], -v[0:1]
	v_accvgpr_write_b32 a53, v29
	v_accvgpr_write_b32 a21, v31
	;; [unrolled: 1-line block ×10, first 2 shown]
	v_add_f64 v[104:105], v[96:97], -v[120:121]
	v_add_f64 v[106:107], v[82:83], v[80:81]
	v_add_f64 v[108:109], v[120:121], v[96:97]
	v_add_f64 v[110:111], v[80:81], -v[82:83]
	v_add_f64 v[112:113], v[12:13], -v[8:9]
	v_add_f64 v[114:115], v[10:11], v[14:15]
	v_accvgpr_write_b32 a52, v28
	v_accvgpr_write_b32 a51, v27
	;; [unrolled: 1-line block ×3, first 2 shown]
	ds_write_b128 v217, v[16:19]
	ds_write_b128 v217, v[20:23] offset:416
	ds_write_b128 v217, v[72:75] offset:832
	;; [unrolled: 1-line block ×6, first 2 shown]
	s_and_saveexec_b64 s[0:1], s[2:3]
	s_cbranch_execz .LBB0_11
; %bb.10:
	s_movk_i32 s16, 0x4f
	v_add_f64 v[0:1], v[0:1], v[4:5]
	v_mul_lo_u16_sdwa v4, v124, s16 dst_sel:DWORD dst_unused:UNUSED_PAD src0_sel:BYTE_0 src1_sel:DWORD
	v_lshrrev_b16_e32 v4, 11, v4
	v_mul_u32_u24_e32 v4, 0xb6, v4
	v_add_u32_e32 v4, v4, v178
	v_add_lshl_u32 v4, v218, v4, 4
	v_add_f64 v[10:11], v[14:15], -v[10:11]
	v_add_f64 v[8:9], v[8:9], v[12:13]
	v_add_f64 v[2:3], v[6:7], -v[2:3]
	ds_write_b128 v4, v[68:71]
	ds_write_b128 v4, v[0:3] offset:416
	ds_write_b128 v4, v[8:11] offset:832
	ds_write_b128 v4, v[104:107] offset:1248
	ds_write_b128 v4, v[108:111] offset:1664
	ds_write_b128 v4, v[112:115] offset:2080
	ds_write_b128 v4, a[50:53] offset:2496
.LBB0_11:
	s_or_b64 exec, exec, s[0:1]
	v_lshlrev_b32_e32 v0, 6, v176
	s_waitcnt lgkmcnt(0)
	s_barrier
	global_load_dwordx4 v[80:83], v0, s[6:7] offset:2704
	global_load_dwordx4 v[76:79], v0, s[6:7] offset:2720
	;; [unrolled: 1-line block ×4, first 2 shown]
	v_lshlrev_b64 v[0:1], 6, v[124:125]
	v_lshl_add_u64 v[0:1], s[6:7], 0, v[0:1]
	global_load_dwordx4 v[96:99], v[0:1], off offset:2704
	global_load_dwordx4 v[92:95], v[0:1], off offset:2720
	;; [unrolled: 1-line block ×4, first 2 shown]
	ds_read_b128 v[116:119], v212
	ds_read_b128 v[120:123], v212 offset:1456
	ds_read_b128 v[0:3], v212 offset:2912
	;; [unrolled: 1-line block ×9, first 2 shown]
	s_mov_b32 s6, 0x134454ff
	s_mov_b32 s7, 0x3fee6f0e
	;; [unrolled: 1-line block ×10, first 2 shown]
	v_lshl_add_u32 v213, v176, 4, v219
	s_waitcnt vmcnt(7) lgkmcnt(7)
	v_mul_f64 v[128:129], v[2:3], v[82:83]
	v_mul_f64 v[140:141], v[0:1], v[82:83]
	s_waitcnt vmcnt(6) lgkmcnt(5)
	v_mul_f64 v[130:131], v[10:11], v[78:79]
	s_waitcnt vmcnt(5) lgkmcnt(3)
	v_mul_f64 v[132:133], v[18:19], v[74:75]
	v_mul_f64 v[142:143], v[8:9], v[78:79]
	;; [unrolled: 1-line block ×3, first 2 shown]
	s_waitcnt vmcnt(4) lgkmcnt(1)
	v_mul_f64 v[134:135], v[102:103], v[70:71]
	v_fma_f64 v[0:1], v[0:1], v[80:81], -v[128:129]
	v_fmac_f64_e32 v[140:141], v[2:3], v[80:81]
	v_fma_f64 v[2:3], v[8:9], v[76:77], -v[130:131]
	v_fma_f64 v[8:9], v[16:17], v[72:73], -v[132:133]
	s_waitcnt vmcnt(3)
	v_mul_f64 v[16:17], v[6:7], v[98:99]
	v_mul_f64 v[146:147], v[100:101], v[70:71]
	v_fmac_f64_e32 v[142:143], v[10:11], v[76:77]
	v_fmac_f64_e32 v[144:145], v[18:19], v[72:73]
	v_fma_f64 v[10:11], v[100:101], v[68:69], -v[134:135]
	v_mul_f64 v[18:19], v[4:5], v[98:99]
	s_waitcnt vmcnt(2)
	v_mul_f64 v[100:101], v[14:15], v[94:95]
	s_waitcnt vmcnt(1)
	v_mul_f64 v[128:129], v[22:23], v[90:91]
	v_fma_f64 v[4:5], v[4:5], v[96:97], -v[16:17]
	v_add_f64 v[16:17], v[116:117], v[0:1]
	v_fmac_f64_e32 v[146:147], v[102:103], v[68:69]
	v_mul_f64 v[102:103], v[12:13], v[94:95]
	v_mul_f64 v[156:157], v[20:21], v[90:91]
	s_waitcnt vmcnt(0) lgkmcnt(0)
	v_mul_f64 v[130:131], v[126:127], v[86:87]
	v_mul_f64 v[158:159], v[124:125], v[86:87]
	v_fmac_f64_e32 v[18:19], v[6:7], v[96:97]
	v_fma_f64 v[6:7], v[12:13], v[92:93], -v[100:101]
	v_fma_f64 v[12:13], v[20:21], v[88:89], -v[128:129]
	v_add_f64 v[20:21], v[2:3], v[8:9]
	v_add_f64 v[128:129], v[0:1], v[10:11]
	v_add_f64 v[16:17], v[16:17], v[2:3]
	v_fmac_f64_e32 v[102:103], v[14:15], v[92:93]
	v_fma_f64 v[14:15], v[124:125], v[84:85], -v[130:131]
	v_fmac_f64_e32 v[158:159], v[126:127], v[84:85]
	v_add_f64 v[100:101], v[142:143], -v[144:145]
	v_add_f64 v[124:125], v[0:1], -v[2:3]
	;; [unrolled: 1-line block ×3, first 2 shown]
	v_fma_f64 v[136:137], -0.5, v[20:21], v[116:117]
	v_fmac_f64_e32 v[116:117], -0.5, v[128:129]
	v_add_f64 v[16:17], v[16:17], v[8:9]
	v_fmac_f64_e32 v[156:157], v[22:23], v[88:89]
	v_add_f64 v[22:23], v[140:141], -v[146:147]
	v_add_f64 v[130:131], v[2:3], -v[0:1]
	v_add_f64 v[20:21], v[124:125], v[126:127]
	v_fma_f64 v[132:133], s[18:19], v[100:101], v[116:117]
	v_add_f64 v[124:125], v[16:17], v[10:11]
	v_add_f64 v[16:17], v[8:9], -v[10:11]
	v_fmac_f64_e32 v[116:117], s[6:7], v[100:101]
	v_fmac_f64_e32 v[132:133], s[0:1], v[22:23]
	v_add_f64 v[16:17], v[130:131], v[16:17]
	v_fmac_f64_e32 v[116:117], s[20:21], v[22:23]
	v_fmac_f64_e32 v[132:133], s[16:17], v[16:17]
	;; [unrolled: 1-line block ×3, first 2 shown]
	v_add_f64 v[16:17], v[118:119], v[140:141]
	v_add_f64 v[16:17], v[16:17], v[142:143]
	;; [unrolled: 1-line block ×5, first 2 shown]
	v_fma_f64 v[138:139], -0.5, v[16:17], v[118:119]
	v_add_f64 v[0:1], v[0:1], -v[10:11]
	v_fma_f64 v[130:131], s[18:19], v[0:1], v[138:139]
	v_add_f64 v[2:3], v[2:3], -v[8:9]
	v_add_f64 v[8:9], v[140:141], -v[142:143]
	;; [unrolled: 1-line block ×3, first 2 shown]
	v_fmac_f64_e32 v[138:139], s[6:7], v[0:1]
	v_fmac_f64_e32 v[130:131], s[20:21], v[2:3]
	v_add_f64 v[8:9], v[8:9], v[10:11]
	v_fmac_f64_e32 v[138:139], s[0:1], v[2:3]
	v_fmac_f64_e32 v[130:131], s[16:17], v[8:9]
	;; [unrolled: 1-line block ×3, first 2 shown]
	v_add_f64 v[8:9], v[140:141], v[146:147]
	v_fmac_f64_e32 v[118:119], -0.5, v[8:9]
	v_fma_f64 v[134:135], s[6:7], v[2:3], v[118:119]
	v_fmac_f64_e32 v[118:119], s[18:19], v[2:3]
	v_fmac_f64_e32 v[134:135], s[20:21], v[0:1]
	;; [unrolled: 1-line block ×3, first 2 shown]
	v_add_f64 v[0:1], v[120:121], v[4:5]
	v_add_f64 v[0:1], v[0:1], v[6:7]
	;; [unrolled: 1-line block ×3, first 2 shown]
	v_add_f64 v[8:9], v[142:143], -v[140:141]
	v_add_f64 v[10:11], v[144:145], -v[146:147]
	v_add_f64 v[140:141], v[0:1], v[14:15]
	v_add_f64 v[0:1], v[6:7], v[12:13]
	;; [unrolled: 1-line block ×3, first 2 shown]
	v_fma_f64 v[148:149], -0.5, v[0:1], v[120:121]
	v_add_f64 v[0:1], v[18:19], -v[158:159]
	v_fmac_f64_e32 v[134:135], s[16:17], v[8:9]
	v_fmac_f64_e32 v[118:119], s[16:17], v[8:9]
	v_fma_f64 v[144:145], s[6:7], v[0:1], v[148:149]
	v_add_f64 v[2:3], v[102:103], -v[156:157]
	v_add_f64 v[8:9], v[4:5], -v[6:7]
	;; [unrolled: 1-line block ×3, first 2 shown]
	v_fmac_f64_e32 v[148:149], s[18:19], v[0:1]
	v_fmac_f64_e32 v[144:145], s[0:1], v[2:3]
	v_add_f64 v[8:9], v[8:9], v[10:11]
	v_fmac_f64_e32 v[148:149], s[20:21], v[2:3]
	v_fmac_f64_e32 v[144:145], s[16:17], v[8:9]
	;; [unrolled: 1-line block ×3, first 2 shown]
	v_add_f64 v[8:9], v[4:5], v[14:15]
	v_fmac_f64_e32 v[120:121], -0.5, v[8:9]
	v_fma_f64 v[152:153], s[18:19], v[2:3], v[120:121]
	v_fmac_f64_e32 v[120:121], s[6:7], v[2:3]
	v_fmac_f64_e32 v[152:153], s[0:1], v[0:1]
	;; [unrolled: 1-line block ×3, first 2 shown]
	v_add_f64 v[0:1], v[122:123], v[18:19]
	v_add_f64 v[0:1], v[0:1], v[102:103]
	;; [unrolled: 1-line block ×5, first 2 shown]
	v_fma_f64 v[150:151], -0.5, v[0:1], v[122:123]
	v_add_f64 v[0:1], v[4:5], -v[14:15]
	v_add_f64 v[8:9], v[6:7], -v[4:5]
	v_fma_f64 v[146:147], s[18:19], v[0:1], v[150:151]
	v_add_f64 v[2:3], v[6:7], -v[12:13]
	v_add_f64 v[4:5], v[18:19], -v[102:103]
	;; [unrolled: 1-line block ×3, first 2 shown]
	v_fmac_f64_e32 v[150:151], s[6:7], v[0:1]
	v_fmac_f64_e32 v[146:147], s[20:21], v[2:3]
	v_add_f64 v[4:5], v[4:5], v[6:7]
	v_fmac_f64_e32 v[150:151], s[0:1], v[2:3]
	v_fmac_f64_e32 v[146:147], s[16:17], v[4:5]
	;; [unrolled: 1-line block ×3, first 2 shown]
	v_add_f64 v[4:5], v[18:19], v[158:159]
	v_fmac_f64_e32 v[122:123], -0.5, v[4:5]
	v_fma_f64 v[128:129], s[6:7], v[22:23], v[136:137]
	v_fmac_f64_e32 v[136:137], s[18:19], v[22:23]
	v_add_f64 v[10:11], v[12:13], -v[14:15]
	v_fma_f64 v[154:155], s[6:7], v[2:3], v[122:123]
	v_add_f64 v[4:5], v[102:103], -v[18:19]
	v_add_f64 v[6:7], v[156:157], -v[158:159]
	v_fmac_f64_e32 v[122:123], s[18:19], v[2:3]
	v_fmac_f64_e32 v[128:129], s[0:1], v[100:101]
	v_fmac_f64_e32 v[136:137], s[20:21], v[100:101]
	v_add_f64 v[8:9], v[8:9], v[10:11]
	v_fmac_f64_e32 v[154:155], s[20:21], v[0:1]
	v_add_f64 v[4:5], v[4:5], v[6:7]
	v_fmac_f64_e32 v[122:123], s[0:1], v[0:1]
	v_fmac_f64_e32 v[128:129], s[16:17], v[20:21]
	;; [unrolled: 1-line block ×7, first 2 shown]
	ds_write_b128 v213, v[124:127]
	ds_write_b128 v213, v[128:131] offset:2912
	ds_write_b128 v213, v[132:135] offset:5824
	;; [unrolled: 1-line block ×9, first 2 shown]
	s_waitcnt lgkmcnt(0)
	s_barrier
	s_and_saveexec_b64 s[0:1], s[4:5]
	s_cbranch_execz .LBB0_13
; %bb.12:
	v_mov_b32_e32 v215, 0
	v_lshl_add_u64 v[156:157], s[14:15], 0, v[214:215]
	v_add_co_u32_e32 v4, vcc, 0x3000, v156
	ds_read_b128 v[0:3], v213
	s_nop 0
	v_addc_co_u32_e32 v5, vcc, 0, v157, vcc
	global_load_dwordx4 v[4:7], v[4:5], off offset:2272
	s_mov_b64 s[6:7], 0x38e0
	v_lshl_add_u64 v[12:13], v[156:157], 0, s[6:7]
	s_movk_i32 s6, 0x4000
	s_waitcnt vmcnt(0) lgkmcnt(0)
	v_mul_f64 v[8:9], v[2:3], v[6:7]
	v_mul_f64 v[10:11], v[0:1], v[6:7]
	v_fma_f64 v[8:9], v[0:1], v[4:5], -v[8:9]
	v_fmac_f64_e32 v[10:11], v[2:3], v[4:5]
	global_load_dwordx4 v[4:7], v[12:13], off offset:1120
	ds_read_b128 v[0:3], v213 offset:1120
	ds_write_b128 v213, v[8:11]
	s_waitcnt vmcnt(0) lgkmcnt(1)
	v_mul_f64 v[8:9], v[2:3], v[6:7]
	v_mul_f64 v[10:11], v[0:1], v[6:7]
	v_fma_f64 v[8:9], v[0:1], v[4:5], -v[8:9]
	v_fmac_f64_e32 v[10:11], v[2:3], v[4:5]
	global_load_dwordx4 v[4:7], v[12:13], off offset:2240
	ds_read_b128 v[0:3], v213 offset:2240
	ds_write_b128 v213, v[8:11] offset:1120
	s_waitcnt vmcnt(0) lgkmcnt(1)
	v_mul_f64 v[8:9], v[2:3], v[6:7]
	v_mul_f64 v[10:11], v[0:1], v[6:7]
	v_fma_f64 v[8:9], v[0:1], v[4:5], -v[8:9]
	v_fmac_f64_e32 v[10:11], v[2:3], v[4:5]
	global_load_dwordx4 v[4:7], v[12:13], off offset:3360
	ds_read_b128 v[0:3], v213 offset:3360
	v_add_co_u32_e32 v12, vcc, s6, v156
	ds_write_b128 v213, v[8:11] offset:2240
	s_nop 0
	v_addc_co_u32_e32 v13, vcc, 0, v157, vcc
	s_movk_i32 s6, 0x5000
	s_waitcnt vmcnt(0) lgkmcnt(1)
	v_mul_f64 v[8:9], v[2:3], v[6:7]
	v_mul_f64 v[10:11], v[0:1], v[6:7]
	v_fma_f64 v[8:9], v[0:1], v[4:5], -v[8:9]
	v_fmac_f64_e32 v[10:11], v[2:3], v[4:5]
	global_load_dwordx4 v[4:7], v[12:13], off offset:2656
	ds_read_b128 v[0:3], v213 offset:4480
	ds_write_b128 v213, v[8:11] offset:3360
	s_waitcnt vmcnt(0) lgkmcnt(1)
	v_mul_f64 v[8:9], v[2:3], v[6:7]
	v_mul_f64 v[10:11], v[0:1], v[6:7]
	v_fma_f64 v[8:9], v[0:1], v[4:5], -v[8:9]
	v_fmac_f64_e32 v[10:11], v[2:3], v[4:5]
	global_load_dwordx4 v[4:7], v[12:13], off offset:3776
	ds_read_b128 v[0:3], v213 offset:5600
	v_add_co_u32_e32 v12, vcc, s6, v156
	ds_write_b128 v213, v[8:11] offset:4480
	s_nop 0
	v_addc_co_u32_e32 v13, vcc, 0, v157, vcc
	s_movk_i32 s6, 0x6000
	s_waitcnt vmcnt(0) lgkmcnt(1)
	v_mul_f64 v[8:9], v[2:3], v[6:7]
	v_mul_f64 v[10:11], v[0:1], v[6:7]
	v_fma_f64 v[8:9], v[0:1], v[4:5], -v[8:9]
	v_fmac_f64_e32 v[10:11], v[2:3], v[4:5]
	global_load_dwordx4 v[4:7], v[12:13], off offset:800
	ds_read_b128 v[0:3], v213 offset:6720
	ds_write_b128 v213, v[8:11] offset:5600
	s_waitcnt vmcnt(0) lgkmcnt(1)
	v_mul_f64 v[8:9], v[2:3], v[6:7]
	v_mul_f64 v[10:11], v[0:1], v[6:7]
	v_fma_f64 v[8:9], v[0:1], v[4:5], -v[8:9]
	v_fmac_f64_e32 v[10:11], v[2:3], v[4:5]
	global_load_dwordx4 v[4:7], v[12:13], off offset:1920
	ds_read_b128 v[0:3], v213 offset:7840
	ds_write_b128 v213, v[8:11] offset:6720
	s_waitcnt vmcnt(0) lgkmcnt(1)
	v_mul_f64 v[8:9], v[2:3], v[6:7]
	v_mul_f64 v[10:11], v[0:1], v[6:7]
	v_fma_f64 v[8:9], v[0:1], v[4:5], -v[8:9]
	v_fmac_f64_e32 v[10:11], v[2:3], v[4:5]
	global_load_dwordx4 v[4:7], v[12:13], off offset:3040
	ds_read_b128 v[0:3], v213 offset:8960
	v_add_co_u32_e32 v12, vcc, s6, v156
	ds_write_b128 v213, v[8:11] offset:7840
	s_nop 0
	v_addc_co_u32_e32 v13, vcc, 0, v157, vcc
	ds_read_b128 v[156:159], v213 offset:13440
	s_waitcnt vmcnt(0) lgkmcnt(2)
	v_mul_f64 v[8:9], v[2:3], v[6:7]
	v_mul_f64 v[10:11], v[0:1], v[6:7]
	v_fma_f64 v[8:9], v[0:1], v[4:5], -v[8:9]
	v_fmac_f64_e32 v[10:11], v[2:3], v[4:5]
	global_load_dwordx4 v[4:7], v[12:13], off offset:64
	ds_read_b128 v[0:3], v213 offset:10080
	ds_write_b128 v213, v[8:11] offset:8960
	s_waitcnt vmcnt(0) lgkmcnt(1)
	v_mul_f64 v[8:9], v[2:3], v[6:7]
	v_mul_f64 v[10:11], v[0:1], v[6:7]
	v_fma_f64 v[8:9], v[0:1], v[4:5], -v[8:9]
	v_fmac_f64_e32 v[10:11], v[2:3], v[4:5]
	global_load_dwordx4 v[4:7], v[12:13], off offset:1184
	ds_read_b128 v[0:3], v213 offset:11200
	ds_write_b128 v213, v[8:11] offset:10080
	;; [unrolled: 8-line block ×3, first 2 shown]
	s_waitcnt vmcnt(0) lgkmcnt(1)
	v_mul_f64 v[8:9], v[2:3], v[6:7]
	v_mul_f64 v[10:11], v[0:1], v[6:7]
	v_fma_f64 v[8:9], v[0:1], v[4:5], -v[8:9]
	v_fmac_f64_e32 v[10:11], v[2:3], v[4:5]
	global_load_dwordx4 v[0:3], v[12:13], off offset:3424
	ds_write_b128 v213, v[8:11] offset:12320
	s_waitcnt vmcnt(0)
	v_mul_f64 v[4:5], v[158:159], v[2:3]
	v_mul_f64 v[6:7], v[156:157], v[2:3]
	v_fma_f64 v[4:5], v[156:157], v[0:1], -v[4:5]
	v_fmac_f64_e32 v[6:7], v[158:159], v[0:1]
	ds_write_b128 v213, v[4:7] offset:13440
.LBB0_13:
	s_or_b64 exec, exec, s[0:1]
	s_waitcnt lgkmcnt(0)
	s_barrier
	s_and_saveexec_b64 s[0:1], s[4:5]
	s_cbranch_execz .LBB0_15
; %bb.14:
	ds_read_b128 v[124:127], v213
	ds_read_b128 v[128:131], v213 offset:1120
	ds_read_b128 v[132:135], v213 offset:2240
	;; [unrolled: 1-line block ×12, first 2 shown]
.LBB0_15:
	s_or_b64 exec, exec, s[0:1]
	s_mov_b32 s6, 0xe00740e9
	s_waitcnt lgkmcnt(0)
	v_add_f64 v[224:225], v[130:131], v[114:115]
	s_mov_b32 s7, 0x3fec55a7
	s_mov_b32 s46, 0x4267c47c
	;; [unrolled: 1-line block ×3, first 2 shown]
	v_add_f64 v[186:187], v[128:129], -v[112:113]
	v_add_f64 v[184:185], v[130:131], -v[114:115]
	s_mov_b32 s47, 0xbfddbe06
	v_mul_f64 v[26:27], v[224:225], s[6:7]
	s_mov_b32 s16, 0x1ea71119
	s_mov_b32 s19, 0xbfea55e2
	v_add_f64 v[206:207], v[128:129], v[112:113]
	v_fma_f64 v[2:3], s[46:47], v[186:187], v[26:27]
	s_mov_b32 s17, 0x3fe22d96
	v_mul_f64 v[30:31], v[184:185], s[18:19]
	v_add_f64 v[4:5], v[126:127], v[2:3]
	v_mul_f64 v[42:43], v[224:225], s[16:17]
	v_fma_f64 v[2:3], v[206:207], s[16:17], -v[30:31]
	s_mov_b32 s26, 0x66966769
	v_add_f64 v[6:7], v[124:125], v[2:3]
	v_fma_f64 v[2:3], s[18:19], v[186:187], v[42:43]
	s_mov_b32 s27, 0xbfefc445
	v_add_f64 v[8:9], v[126:127], v[2:3]
	s_mov_b32 s20, 0xebaa3ed8
	v_mul_f64 v[2:3], v[184:185], s[26:27]
	s_mov_b32 s21, 0x3fbedb7d
	v_accvgpr_write_b32 a61, v3
	v_mul_f64 v[12:13], v[224:225], s[20:21]
	v_accvgpr_write_b32 a60, v2
	v_fma_f64 v[2:3], v[206:207], s[20:21], -v[2:3]
	v_add_f64 v[10:11], v[124:125], v[2:3]
	v_accvgpr_write_b32 a67, v13
	v_fma_f64 v[2:3], s[26:27], v[186:187], v[12:13]
	v_mul_f64 v[24:25], v[184:185], s[46:47]
	v_accvgpr_write_b32 a66, v12
	v_add_f64 v[12:13], v[126:127], v[2:3]
	v_add_f64 v[2:3], v[134:135], -v[110:111]
	v_fma_f64 v[0:1], v[206:207], s[6:7], -v[24:25]
	v_add_f64 v[230:231], v[132:133], v[108:109]
	v_add_f64 v[248:249], v[134:135], v[110:111]
	v_mul_f64 v[28:29], v[2:3], s[18:19]
	v_add_f64 v[0:1], v[124:125], v[0:1]
	v_add_f64 v[14:15], v[132:133], -v[108:109]
	v_mul_f64 v[32:33], v[248:249], s[16:17]
	v_fma_f64 v[16:17], v[230:231], s[16:17], -v[28:29]
	s_mov_b32 s28, 0x2ef20147
	v_add_f64 v[0:1], v[16:17], v[0:1]
	v_fma_f64 v[16:17], s[18:19], v[14:15], v[32:33]
	s_mov_b32 s29, 0xbfedeba7
	v_add_f64 v[16:17], v[16:17], v[4:5]
	s_mov_b32 s22, 0xb2365da1
	v_mul_f64 v[4:5], v[2:3], s[28:29]
	s_mov_b32 s23, 0xbfd6b1d8
	v_accvgpr_write_b32 a59, v5
	v_mul_f64 v[18:19], v[248:249], s[22:23]
	v_accvgpr_write_b32 a58, v4
	v_fma_f64 v[4:5], v[230:231], s[22:23], -v[4:5]
	v_add_f64 v[6:7], v[4:5], v[6:7]
	v_accvgpr_write_b32 a65, v19
	v_fma_f64 v[4:5], s[28:29], v[14:15], v[18:19]
	s_mov_b32 s43, 0xbfcea1e5
	s_mov_b32 s42, 0x4bc48dbf
	v_accvgpr_write_b32 a64, v18
	v_add_f64 v[18:19], v[4:5], v[8:9]
	s_mov_b32 s24, 0x93053d00
	v_mul_f64 v[4:5], v[2:3], s[42:43]
	s_mov_b32 s25, 0xbfef11f4
	v_accvgpr_write_b32 a75, v5
	v_mul_f64 v[234:235], v[248:249], s[24:25]
	v_accvgpr_write_b32 a74, v4
	v_fma_f64 v[4:5], v[230:231], s[24:25], -v[4:5]
	v_add_f64 v[10:11], v[4:5], v[10:11]
	v_fma_f64 v[4:5], s[42:43], v[14:15], v[234:235]
	v_add_f64 v[200:201], v[118:119], -v[106:107]
	v_add_f64 v[12:13], v[4:5], v[12:13]
	v_add_f64 v[252:253], v[116:117], v[104:105]
	;; [unrolled: 1-line block ×3, first 2 shown]
	v_mul_f64 v[232:233], v[200:201], s[26:27]
	v_add_f64 v[8:9], v[116:117], -v[104:105]
	v_mul_f64 v[22:23], v[4:5], s[20:21]
	v_fma_f64 v[20:21], v[252:253], s[20:21], -v[232:233]
	v_add_f64 v[20:21], v[20:21], v[0:1]
	v_fma_f64 v[0:1], s[26:27], v[8:9], v[22:23]
	v_add_f64 v[16:17], v[0:1], v[16:17]
	v_mul_f64 v[0:1], v[200:201], s[42:43]
	v_accvgpr_write_b32 a63, v23
	v_accvgpr_write_b32 a71, v1
	;; [unrolled: 1-line block ×3, first 2 shown]
	v_mul_f64 v[22:23], v[4:5], s[24:25]
	v_accvgpr_write_b32 a70, v0
	v_fma_f64 v[0:1], v[252:253], s[24:25], -v[0:1]
	s_mov_b32 s39, 0x3fedeba7
	s_mov_b32 s38, s28
	v_add_f64 v[6:7], v[0:1], v[6:7]
	v_fma_f64 v[0:1], s[42:43], v[8:9], v[22:23]
	v_mul_f64 v[240:241], v[200:201], s[38:39]
	v_add_f64 v[18:19], v[0:1], v[18:19]
	v_mul_f64 v[246:247], v[4:5], s[22:23]
	v_fma_f64 v[0:1], v[252:253], s[22:23], -v[240:241]
	v_add_f64 v[204:205], v[138:139], -v[150:151]
	v_accvgpr_write_b32 a77, v23
	v_add_f64 v[10:11], v[0:1], v[10:11]
	v_fma_f64 v[0:1], s[38:39], v[8:9], v[246:247]
	v_mul_f64 v[100:101], v[204:205], s[28:29]
	v_accvgpr_write_b32 a76, v22
	v_add_f64 v[22:23], v[0:1], v[12:13]
	v_add_f64 v[0:1], v[136:137], v[148:149]
	;; [unrolled: 1-line block ×3, first 2 shown]
	v_accvgpr_write_b32 a68, v100
	s_mov_b32 s40, 0x24c2f84
	v_add_f64 v[12:13], v[136:137], -v[148:149]
	v_mul_f64 v[102:103], v[194:195], s[22:23]
	v_accvgpr_write_b32 a69, v101
	v_fma_f64 v[100:101], v[0:1], s[22:23], -v[100:101]
	s_mov_b32 s30, 0xd0032e0c
	s_mov_b32 s41, 0x3fe5384d
	v_add_f64 v[20:21], v[100:101], v[20:21]
	v_accvgpr_write_b32 a72, v102
	v_fma_f64 v[100:101], s[28:29], v[12:13], v[102:103]
	s_mov_b32 s31, 0xbfe7f3cc
	v_mul_f64 v[238:239], v[204:205], s[40:41]
	v_accvgpr_write_b32 a73, v103
	v_add_f64 v[102:103], v[100:101], v[16:17]
	v_mul_f64 v[244:245], v[194:195], s[30:31]
	v_fma_f64 v[16:17], v[0:1], s[30:31], -v[238:239]
	s_mov_b32 s35, 0x3fddbe06
	s_mov_b32 s34, s46
	v_add_f64 v[6:7], v[16:17], v[6:7]
	v_fma_f64 v[16:17], s[40:41], v[12:13], v[244:245]
	v_mul_f64 v[192:193], v[204:205], s[34:35]
	v_add_f64 v[156:157], v[16:17], v[18:19]
	v_mul_f64 v[100:101], v[194:195], s[6:7]
	v_fma_f64 v[16:17], v[0:1], s[6:7], -v[192:193]
	v_add_f64 v[10:11], v[16:17], v[10:11]
	v_fma_f64 v[16:17], s[34:35], v[12:13], v[100:101]
	v_add_f64 v[208:209], v[142:143], -v[122:123]
	s_mov_b32 s37, 0xbfe5384d
	s_mov_b32 s36, s40
	v_add_f64 v[22:23], v[16:17], v[22:23]
	v_add_f64 v[16:17], v[140:141], v[120:121]
	;; [unrolled: 1-line block ×3, first 2 shown]
	v_mul_f64 v[236:237], v[208:209], s[36:37]
	v_add_f64 v[18:19], v[140:141], -v[120:121]
	v_mul_f64 v[242:243], v[168:169], s[30:31]
	v_fma_f64 v[158:159], v[16:17], s[30:31], -v[236:237]
	s_mov_b32 s45, 0x3fefc445
	s_mov_b32 s44, s26
	v_add_f64 v[158:159], v[158:159], v[20:21]
	v_fma_f64 v[20:21], s[36:37], v[18:19], v[242:243]
	v_mul_f64 v[254:255], v[208:209], s[44:45]
	v_add_f64 v[102:103], v[20:21], v[102:103]
	v_mul_f64 v[188:189], v[168:169], s[20:21]
	v_fma_f64 v[20:21], v[16:17], s[20:21], -v[254:255]
	v_add_f64 v[160:161], v[20:21], v[6:7]
	v_fma_f64 v[6:7], s[44:45], v[18:19], v[188:189]
	v_add_f64 v[156:157], v[6:7], v[156:157]
	v_mul_f64 v[6:7], v[208:209], s[18:19]
	v_mul_f64 v[20:21], v[168:169], s[16:17]
	v_fma_f64 v[162:163], v[16:17], s[16:17], -v[6:7]
	v_add_f64 v[210:211], v[146:147], -v[154:155]
	v_add_f64 v[172:173], v[162:163], v[10:11]
	v_fma_f64 v[10:11], s[18:19], v[18:19], v[20:21]
	v_add_f64 v[196:197], v[144:145], v[152:153]
	v_add_f64 v[170:171], v[146:147], v[154:155]
	v_mul_f64 v[250:251], v[210:211], s[42:43]
	v_add_f64 v[174:175], v[10:11], v[22:23]
	v_add_f64 v[198:199], v[144:145], -v[152:153]
	v_mul_f64 v[190:191], v[170:171], s[24:25]
	v_fma_f64 v[10:11], v[196:197], s[24:25], -v[250:251]
	v_add_f64 v[164:165], v[10:11], v[158:159]
	v_fma_f64 v[10:11], s[42:43], v[198:199], v[190:191]
	v_add_f64 v[166:167], v[10:11], v[102:103]
	v_mul_f64 v[102:103], v[210:211], s[34:35]
	v_mul_f64 v[10:11], v[170:171], s[6:7]
	v_fma_f64 v[22:23], v[196:197], s[6:7], -v[102:103]
	v_add_f64 v[160:161], v[22:23], v[160:161]
	v_fma_f64 v[22:23], s[34:35], v[198:199], v[10:11]
	v_add_f64 v[162:163], v[22:23], v[156:157]
	v_mul_f64 v[22:23], v[210:211], s[36:37]
	v_mul_f64 v[202:203], v[170:171], s[30:31]
	v_fma_f64 v[156:157], v[196:197], s[30:31], -v[22:23]
	v_fma_f64 v[158:159], s[36:37], v[198:199], v[202:203]
	v_add_f64 v[156:157], v[156:157], v[172:173]
	v_add_f64 v[158:159], v[158:159], v[174:175]
	s_barrier
	s_and_saveexec_b64 s[0:1], s[4:5]
	s_cbranch_execz .LBB0_17
; %bb.16:
	v_mul_f64 v[172:173], v[206:207], s[6:7]
	v_accvgpr_write_b32 a82, v172
	v_accvgpr_write_b32 a83, v173
	v_mul_f64 v[172:173], v[186:187], s[46:47]
	v_accvgpr_write_b32 a84, v172
	v_accvgpr_write_b32 a85, v173
	;; [unrolled: 3-line block ×7, first 2 shown]
	v_accvgpr_write_b32 a9, v221
	v_accvgpr_write_b32 a10, v222
	;; [unrolled: 1-line block ×3, first 2 shown]
	v_mul_f64 v[222:223], v[186:187], s[42:43]
	v_accvgpr_write_b32 a12, v226
	v_accvgpr_write_b32 a107, v173
	v_mul_f64 v[172:173], v[8:9], s[42:43]
	v_accvgpr_write_b32 a1, v219
	v_mul_f64 v[218:219], v[14:15], s[34:35]
	v_accvgpr_write_b32 a13, v227
	v_accvgpr_write_b32 a14, v228
	v_accvgpr_write_b32 a15, v229
	v_fma_f64 v[226:227], s[24:25], v[224:225], v[222:223]
	v_accvgpr_write_b32 a109, v31
	v_accvgpr_write_b32 a92, v172
	s_mov_b32 s47, 0x3fea55e2
	s_mov_b32 s46, s18
	v_accvgpr_write_b32 a4, v214
	v_mul_f64 v[214:215], v[8:9], s[36:37]
	v_fma_f64 v[220:221], s[6:7], v[248:249], v[218:219]
	v_add_f64 v[226:227], v[126:127], v[226:227]
	v_accvgpr_write_b32 a105, v27
	v_accvgpr_write_b32 a108, v30
	v_mul_f64 v[30:31], v[184:185], s[42:43]
	v_accvgpr_write_b32 a100, v232
	v_accvgpr_write_b32 a93, v173
	v_mul_f64 v[172:173], v[198:199], s[42:43]
	;; [unrolled: 3-line block ×3, first 2 shown]
	v_accvgpr_write_b32 a47, v216
	v_accvgpr_write_b32 a48, v217
	v_fma_f64 v[216:217], s[30:31], v[4:5], v[214:215]
	v_add_f64 v[220:221], v[220:221], v[226:227]
	v_accvgpr_write_b32 a104, v26
	v_mul_f64 v[26:27], v[2:3], s[34:35]
	v_accvgpr_write_b32 a99, v29
	v_accvgpr_write_b32 a101, v233
	v_fma_f64 v[232:233], v[206:207], s[24:25], -v[30:31]
	v_accvgpr_write_b32 a90, v172
	v_accvgpr_write_b32 a0, v176
	;; [unrolled: 1-line block ×3, first 2 shown]
	v_mul_f64 v[176:177], v[18:19], s[28:29]
	v_accvgpr_write_b32 a45, v182
	v_accvgpr_write_b32 a46, v183
	v_fma_f64 v[182:183], s[16:17], v[194:195], v[180:181]
	v_add_f64 v[216:217], v[216:217], v[220:221]
	v_mul_f64 v[228:229], v[200:201], s[36:37]
	v_accvgpr_write_b32 a97, v25
	v_accvgpr_write_b32 a98, v28
	v_fma_f64 v[28:29], v[230:231], s[6:7], -v[26:27]
	v_add_f64 v[232:233], v[124:125], v[232:233]
	v_accvgpr_write_b32 a91, v173
	v_mul_f64 v[172:173], v[198:199], s[44:45]
	v_accvgpr_write_b32 a6, v178
	v_accvgpr_write_b32 a7, v179
	v_fma_f64 v[178:179], s[22:23], v[168:169], v[176:177]
	v_add_f64 v[182:183], v[182:183], v[216:217]
	v_mul_f64 v[220:221], v[204:205], s[46:47]
	v_accvgpr_write_b32 a96, v24
	v_fma_f64 v[24:25], v[252:253], s[30:31], -v[228:229]
	v_add_f64 v[28:29], v[28:29], v[232:233]
	v_fma_f64 v[174:175], s[20:21], v[170:171], v[172:173]
	v_add_f64 v[178:179], v[178:179], v[182:183]
	v_accvgpr_write_b32 a81, v41
	v_mul_f64 v[182:183], v[208:209], s[28:29]
	v_fma_f64 v[226:227], v[0:1], s[16:17], -v[220:221]
	v_add_f64 v[24:25], v[24:25], v[28:29]
	v_accvgpr_write_b32 a80, v40
	v_accvgpr_write_b32 a79, v39
	v_accvgpr_write_b32 a78, v38
	v_add_f64 v[40:41], v[174:175], v[178:179]
	v_mul_f64 v[178:179], v[210:211], s[44:45]
	v_fma_f64 v[216:217], v[16:17], s[22:23], -v[182:183]
	v_add_f64 v[24:25], v[226:227], v[24:25]
	v_fma_f64 v[174:175], v[196:197], s[20:21], -v[178:179]
	v_add_f64 v[24:25], v[216:217], v[24:25]
	v_add_f64 v[38:39], v[174:175], v[24:25]
	v_fma_f64 v[24:25], v[170:171], s[20:21], -v[172:173]
	v_fma_f64 v[172:173], v[194:195], s[16:17], -v[180:181]
	;; [unrolled: 1-line block ×5, first 2 shown]
	v_add_f64 v[180:181], v[126:127], v[180:181]
	v_fma_f64 v[174:175], v[4:5], s[30:31], -v[214:215]
	v_add_f64 v[176:177], v[176:177], v[180:181]
	v_add_f64 v[174:175], v[174:175], v[176:177]
	;; [unrolled: 1-line block ×4, first 2 shown]
	v_fmac_f64_e32 v[30:31], s[24:25], v[206:207]
	v_add_f64 v[174:175], v[24:25], v[28:29]
	v_fmac_f64_e32 v[26:27], s[6:7], v[230:231]
	v_add_f64 v[24:25], v[124:125], v[30:31]
	;; [unrolled: 2-line block ×4, first 2 shown]
	v_mul_f64 v[218:219], v[186:187], s[36:37]
	v_fmac_f64_e32 v[182:183], s[22:23], v[16:17]
	v_add_f64 v[24:25], v[220:221], v[24:25]
	v_mul_f64 v[214:215], v[14:15], s[44:45]
	v_fma_f64 v[220:221], s[30:31], v[224:225], v[218:219]
	v_fma_f64 v[218:219], v[224:225], s[30:31], -v[218:219]
	v_fmac_f64_e32 v[178:179], s[20:21], v[196:197]
	v_add_f64 v[24:25], v[182:183], v[24:25]
	s_mov_b32 s43, 0x3fcea1e5
	v_mul_f64 v[182:183], v[8:9], s[18:19]
	v_fma_f64 v[216:217], s[20:21], v[248:249], v[214:215]
	v_fma_f64 v[214:215], v[248:249], s[20:21], -v[214:215]
	v_add_f64 v[218:219], v[126:127], v[218:219]
	v_add_f64 v[172:173], v[178:179], v[24:25]
	v_mul_f64 v[180:181], v[12:13], s[42:43]
	v_fma_f64 v[178:179], s[16:17], v[4:5], v[182:183]
	v_add_f64 v[220:221], v[126:127], v[220:221]
	v_add_f64 v[214:215], v[214:215], v[218:219]
	v_fma_f64 v[182:183], v[4:5], s[16:17], -v[182:183]
	v_mul_f64 v[28:29], v[18:19], s[34:35]
	v_fma_f64 v[176:177], s[24:25], v[194:195], v[180:181]
	v_add_f64 v[216:217], v[216:217], v[220:221]
	v_add_f64 v[182:183], v[182:183], v[214:215]
	v_fma_f64 v[180:181], v[194:195], s[24:25], -v[180:181]
	v_mul_f64 v[24:25], v[198:199], s[28:29]
	v_fma_f64 v[30:31], s[6:7], v[168:169], v[28:29]
	v_add_f64 v[178:179], v[178:179], v[216:217]
	v_mul_f64 v[226:227], v[184:185], s[36:37]
	v_fma_f64 v[28:29], v[168:169], s[6:7], -v[28:29]
	v_add_f64 v[180:181], v[180:181], v[182:183]
	v_fma_f64 v[26:27], s[22:23], v[170:171], v[24:25]
	v_add_f64 v[176:177], v[176:177], v[178:179]
	v_mul_f64 v[222:223], v[2:3], s[44:45]
	v_fma_f64 v[228:229], v[206:207], s[30:31], -v[226:227]
	v_fma_f64 v[24:25], v[170:171], s[22:23], -v[24:25]
	v_add_f64 v[28:29], v[28:29], v[180:181]
	v_fmac_f64_e32 v[226:227], s[30:31], v[206:207]
	v_add_f64 v[30:31], v[30:31], v[176:177]
	v_mul_f64 v[220:221], v[200:201], s[18:19]
	v_fma_f64 v[176:177], v[230:231], s[20:21], -v[222:223]
	v_add_f64 v[228:229], v[124:125], v[228:229]
	v_add_f64 v[182:183], v[24:25], v[28:29]
	v_fmac_f64_e32 v[222:223], s[20:21], v[230:231]
	v_add_f64 v[24:25], v[124:125], v[226:227]
	v_mul_f64 v[226:227], v[186:187], s[28:29]
	v_mul_f64 v[216:217], v[204:205], s[42:43]
	v_add_f64 v[176:177], v[176:177], v[228:229]
	v_fma_f64 v[228:229], v[252:253], s[16:17], -v[220:221]
	v_mul_f64 v[232:233], v[14:15], s[18:19]
	v_mul_f64 v[214:215], v[14:15], s[28:29]
	v_fmac_f64_e32 v[220:221], s[16:17], v[252:253]
	v_add_f64 v[24:25], v[222:223], v[24:25]
	v_mul_f64 v[14:15], v[14:15], s[40:41]
	v_fma_f64 v[186:187], s[22:23], v[224:225], v[226:227]
	v_add_f64 v[178:179], v[26:27], v[30:31]
	v_mul_f64 v[30:31], v[208:209], s[34:35]
	v_add_f64 v[176:177], v[228:229], v[176:177]
	v_fma_f64 v[228:229], v[0:1], s[24:25], -v[216:217]
	v_fmac_f64_e32 v[216:217], s[24:25], v[0:1]
	v_add_f64 v[24:25], v[220:221], v[24:25]
	v_mul_f64 v[220:221], v[8:9], s[34:35]
	v_fma_f64 v[222:223], s[30:31], v[248:249], v[14:15]
	v_add_f64 v[186:187], v[126:127], v[186:187]
	v_mul_f64 v[26:27], v[210:211], s[28:29]
	v_add_f64 v[176:177], v[228:229], v[176:177]
	v_fma_f64 v[228:229], v[16:17], s[6:7], -v[30:31]
	v_fmac_f64_e32 v[30:31], s[6:7], v[16:17]
	v_add_f64 v[24:25], v[216:217], v[24:25]
	v_mul_f64 v[216:217], v[12:13], s[26:27]
	v_add_f64 v[186:187], v[222:223], v[186:187]
	v_fma_f64 v[222:223], s[6:7], v[4:5], v[220:221]
	v_add_f64 v[176:177], v[228:229], v[176:177]
	v_fma_f64 v[228:229], v[196:197], s[22:23], -v[26:27]
	v_fmac_f64_e32 v[26:27], s[22:23], v[196:197]
	v_add_f64 v[24:25], v[30:31], v[24:25]
	v_mul_f64 v[28:29], v[18:19], s[42:43]
	v_add_f64 v[186:187], v[222:223], v[186:187]
	v_fma_f64 v[222:223], s[20:21], v[194:195], v[216:217]
	v_add_f64 v[180:181], v[26:27], v[24:25]
	v_mul_f64 v[24:25], v[198:199], s[46:47]
	v_fma_f64 v[30:31], s[24:25], v[168:169], v[28:29]
	v_add_f64 v[186:187], v[222:223], v[186:187]
	v_fma_f64 v[26:27], s[16:17], v[170:171], v[24:25]
	v_add_f64 v[30:31], v[30:31], v[186:187]
	v_add_f64 v[186:187], v[26:27], v[30:31]
	v_mul_f64 v[26:27], v[210:211], s[46:47]
	v_mul_f64 v[210:211], v[184:185], s[28:29]
	;; [unrolled: 1-line block ×3, first 2 shown]
	v_fma_f64 v[184:185], v[206:207], s[22:23], -v[210:211]
	v_fma_f64 v[224:225], v[224:225], s[22:23], -v[226:227]
	v_mul_f64 v[30:31], v[208:209], s[42:43]
	v_mul_f64 v[200:201], v[200:201], s[34:35]
	v_fma_f64 v[208:209], v[230:231], s[30:31], -v[2:3]
	v_add_f64 v[184:185], v[124:125], v[184:185]
	v_fma_f64 v[14:15], v[248:249], s[30:31], -v[14:15]
	v_add_f64 v[224:225], v[126:127], v[224:225]
	v_mul_f64 v[204:205], v[204:205], s[26:27]
	v_add_f64 v[184:185], v[208:209], v[184:185]
	v_fma_f64 v[208:209], v[252:253], s[6:7], -v[200:201]
	v_fma_f64 v[4:5], v[4:5], s[6:7], -v[220:221]
	v_add_f64 v[14:15], v[14:15], v[224:225]
	v_fmac_f64_e32 v[210:211], s[22:23], v[206:207]
	v_add_f64 v[184:185], v[208:209], v[184:185]
	v_fma_f64 v[208:209], v[0:1], s[20:21], -v[204:205]
	v_mul_f64 v[220:221], v[0:1], s[22:23]
	v_mul_f64 v[226:227], v[0:1], s[30:31]
	v_add_f64 v[4:5], v[4:5], v[14:15]
	v_mul_f64 v[14:15], v[0:1], s[6:7]
	v_fmac_f64_e32 v[204:205], s[20:21], v[0:1]
	v_fmac_f64_e32 v[2:3], s[30:31], v[230:231]
	v_add_f64 v[0:1], v[124:125], v[210:211]
	v_fmac_f64_e32 v[200:201], s[6:7], v[252:253]
	v_add_f64 v[0:1], v[2:3], v[0:1]
	v_fma_f64 v[194:195], v[194:195], s[20:21], -v[216:217]
	v_add_f64 v[0:1], v[200:201], v[0:1]
	v_add_f64 v[184:185], v[208:209], v[184:185]
	v_fma_f64 v[208:209], v[16:17], s[24:25], -v[30:31]
	v_fma_f64 v[28:29], v[168:169], s[24:25], -v[28:29]
	v_add_f64 v[4:5], v[194:195], v[4:5]
	v_fmac_f64_e32 v[30:31], s[24:25], v[16:17]
	v_add_f64 v[0:1], v[204:205], v[0:1]
	v_add_f64 v[184:185], v[208:209], v[184:185]
	v_fma_f64 v[208:209], v[196:197], s[16:17], -v[26:27]
	v_fma_f64 v[24:25], v[170:171], s[16:17], -v[24:25]
	v_add_f64 v[4:5], v[28:29], v[4:5]
	v_accvgpr_write_b32 a57, v37
	v_fmac_f64_e32 v[26:27], s[16:17], v[196:197]
	v_add_f64 v[0:1], v[30:31], v[0:1]
	v_mul_f64 v[28:29], v[18:19], s[36:37]
	v_accvgpr_write_b32 a56, v36
	v_accvgpr_write_b32 a55, v35
	;; [unrolled: 1-line block ×3, first 2 shown]
	v_mul_f64 v[34:35], v[18:19], s[44:45]
	v_mul_f64 v[18:19], v[18:19], s[18:19]
	v_add_f64 v[2:3], v[24:25], v[4:5]
	v_add_f64 v[0:1], v[26:27], v[0:1]
	v_accvgpr_read_b32 v24, a66
	v_accvgpr_read_b32 v26, a102
	v_add_f64 v[18:19], v[20:21], -v[18:19]
	v_accvgpr_read_b32 v20, a106
	v_accvgpr_read_b32 v25, a67
	v_accvgpr_read_b32 v27, a103
	v_accvgpr_read_b32 v21, a107
	v_add_f64 v[24:25], v[24:25], -v[26:27]
	v_mul_f64 v[170:171], v[8:9], s[26:27]
	v_mul_f64 v[8:9], v[8:9], s[38:39]
	v_add_f64 v[20:21], v[234:235], -v[20:21]
	v_add_f64 v[24:25], v[126:127], v[24:25]
	v_mul_f64 v[248:249], v[12:13], s[28:29]
	v_mul_f64 v[224:225], v[12:13], s[40:41]
	;; [unrolled: 1-line block ×3, first 2 shown]
	v_add_f64 v[8:9], v[246:247], -v[8:9]
	v_add_f64 v[20:21], v[20:21], v[24:25]
	v_add_f64 v[12:13], v[100:101], -v[12:13]
	v_add_f64 v[8:9], v[8:9], v[20:21]
	v_add_f64 v[8:9], v[12:13], v[8:9]
	v_mul_f64 v[194:195], v[16:17], s[30:31]
	v_mov_b64_e32 v[36:37], v[32:33]
	v_mul_f64 v[32:33], v[16:17], s[20:21]
	v_mul_f64 v[16:17], v[16:17], s[16:17]
	v_add_f64 v[8:9], v[18:19], v[8:9]
	v_accvgpr_read_b32 v18, a60
	v_accvgpr_read_b32 v20, a94
	v_add_f64 v[6:7], v[16:17], v[6:7]
	v_accvgpr_read_b32 v16, a74
	v_accvgpr_read_b32 v19, a61
	;; [unrolled: 1-line block ×3, first 2 shown]
	v_add_f64 v[184:185], v[208:209], v[184:185]
	v_mul_f64 v[208:209], v[230:231], s[24:25]
	v_accvgpr_read_b32 v17, a75
	v_add_f64 v[18:19], v[20:21], v[18:19]
	v_mul_f64 v[216:217], v[252:253], s[22:23]
	v_add_f64 v[16:17], v[208:209], v[16:17]
	v_add_f64 v[18:19], v[124:125], v[18:19]
	;; [unrolled: 1-line block ×7, first 2 shown]
	v_accvgpr_read_b32 v14, a76
	v_accvgpr_read_b32 v16, a92
	v_accvgpr_read_b32 v15, a77
	v_accvgpr_read_b32 v17, a93
	v_accvgpr_read_b32 v18, a88
	v_mul_f64 v[210:211], v[198:199], s[34:35]
	v_mul_f64 v[198:199], v[198:199], s[36:37]
	v_add_f64 v[14:15], v[14:15], -v[16:17]
	v_accvgpr_read_b32 v16, a64
	v_accvgpr_read_b32 v19, a89
	v_add_f64 v[176:177], v[228:229], v[176:177]
	v_mul_f64 v[228:229], v[230:231], s[16:17]
	v_mul_f64 v[218:219], v[230:231], s[22:23]
	;; [unrolled: 1-line block ×5, first 2 shown]
	v_add_f64 v[4:5], v[202:203], -v[198:199]
	v_accvgpr_read_b32 v17, a65
	v_add_f64 v[18:19], v[42:43], -v[18:19]
	v_add_f64 v[8:9], v[4:5], v[8:9]
	v_add_f64 v[4:5], v[196:197], v[22:23]
	v_add_f64 v[16:17], v[16:17], -v[214:215]
	v_add_f64 v[18:19], v[126:127], v[18:19]
	v_accvgpr_read_b32 v20, a86
	v_accvgpr_read_b32 v22, a108
	v_add_f64 v[16:17], v[16:17], v[18:19]
	v_accvgpr_read_b32 v18, a58
	v_accvgpr_read_b32 v21, a87
	;; [unrolled: 1-line block ×3, first 2 shown]
	v_add_f64 v[14:15], v[14:15], v[16:17]
	v_accvgpr_read_b32 v16, a70
	v_accvgpr_read_b32 v19, a59
	v_add_f64 v[20:21], v[20:21], v[22:23]
	v_mul_f64 v[168:169], v[252:253], s[24:25]
	v_accvgpr_read_b32 v17, a71
	v_add_f64 v[18:19], v[218:219], v[18:19]
	v_add_f64 v[20:21], v[124:125], v[20:21]
	v_accvgpr_read_b32 v22, a84
	v_accvgpr_read_b32 v24, a104
	v_add_f64 v[6:7], v[6:7], v[12:13]
	v_add_f64 v[12:13], v[244:245], -v[224:225]
	v_add_f64 v[16:17], v[168:169], v[16:17]
	v_add_f64 v[18:19], v[18:19], v[20:21]
	v_accvgpr_read_b32 v23, a85
	v_accvgpr_read_b32 v25, a105
	v_add_f64 v[6:7], v[4:5], v[6:7]
	v_add_f64 v[4:5], v[10:11], -v[210:211]
	v_add_f64 v[10:11], v[188:189], -v[34:35]
	v_add_f64 v[12:13], v[12:13], v[14:15]
	v_add_f64 v[14:15], v[226:227], v[238:239]
	;; [unrolled: 1-line block ×3, first 2 shown]
	v_accvgpr_read_b32 v18, a62
	v_add_f64 v[22:23], v[24:25], -v[22:23]
	v_add_f64 v[10:11], v[10:11], v[12:13]
	v_add_f64 v[14:15], v[14:15], v[16:17]
	v_accvgpr_read_b32 v16, a72
	v_accvgpr_read_b32 v19, a63
	v_add_f64 v[20:21], v[36:37], -v[232:233]
	v_add_f64 v[22:23], v[126:127], v[22:23]
	v_accvgpr_read_b32 v24, a82
	v_accvgpr_read_b32 v26, a96
	v_add_f64 v[12:13], v[4:5], v[10:11]
	v_add_f64 v[10:11], v[32:33], v[254:255]
	v_accvgpr_read_b32 v17, a73
	v_add_f64 v[18:19], v[18:19], -v[170:171]
	v_add_f64 v[20:21], v[20:21], v[22:23]
	v_accvgpr_read_b32 v22, a98
	v_accvgpr_read_b32 v25, a83
	;; [unrolled: 1-line block ×3, first 2 shown]
	v_add_f64 v[4:5], v[206:207], v[102:103]
	v_add_f64 v[10:11], v[10:11], v[14:15]
	v_add_f64 v[16:17], v[16:17], -v[248:249]
	v_add_f64 v[18:19], v[18:19], v[20:21]
	v_accvgpr_read_b32 v20, a100
	v_accvgpr_read_b32 v23, a99
	v_add_f64 v[24:25], v[24:25], v[26:27]
	v_mul_f64 v[222:223], v[252:253], s[20:21]
	v_add_f64 v[10:11], v[4:5], v[10:11]
	v_accvgpr_read_b32 v4, a90
	v_add_f64 v[16:17], v[16:17], v[18:19]
	v_accvgpr_read_b32 v18, a68
	v_accvgpr_read_b32 v21, a101
	v_add_f64 v[22:23], v[228:229], v[22:23]
	v_add_f64 v[24:25], v[124:125], v[24:25]
	v_accvgpr_read_b32 v5, a91
	v_add_f64 v[14:15], v[242:243], -v[28:29]
	v_accvgpr_read_b32 v19, a69
	v_add_f64 v[20:21], v[222:223], v[20:21]
	v_add_f64 v[22:23], v[22:23], v[24:25]
	v_add_f64 v[4:5], v[190:191], -v[4:5]
	v_add_f64 v[14:15], v[14:15], v[16:17]
	v_add_f64 v[18:19], v[220:221], v[18:19]
	;; [unrolled: 1-line block ×32, first 2 shown]
	v_accvgpr_read_b32 v219, a1
	v_add_f64 v[18:19], v[4:5], v[112:113]
	v_accvgpr_read_b32 v4, a3
	v_lshl_add_u32 v4, v4, 4, v219
	v_accvgpr_read_b32 v34, a54
	v_accvgpr_read_b32 v223, a11
	;; [unrolled: 1-line block ×3, first 2 shown]
	ds_write_b128 v4, v[18:21]
	ds_write_b128 v4, v[14:17] offset:16
	ds_write_b128 v4, v[10:13] offset:32
	;; [unrolled: 1-line block ×7, first 2 shown]
	v_accvgpr_read_b32 v38, a78
	v_accvgpr_read_b32 v217, a48
	;; [unrolled: 1-line block ×20, first 2 shown]
	ds_write_b128 v4, v[176:179] offset:128
	v_accvgpr_read_b32 v179, a7
	v_accvgpr_read_b32 v178, a6
	;; [unrolled: 1-line block ×4, first 2 shown]
	ds_write_b128 v4, v[184:187] offset:144
	ds_write_b128 v4, v[156:159] offset:160
	;; [unrolled: 1-line block ×4, first 2 shown]
.LBB0_17:
	s_or_b64 exec, exec, s[0:1]
	v_accvgpr_read_b32 v26, a36
	v_accvgpr_read_b32 v28, a38
	;; [unrolled: 1-line block ×3, first 2 shown]
	s_waitcnt lgkmcnt(0)
	s_barrier
	ds_read_b128 v[0:3], v212 offset:7280
	ds_read_b128 v[4:7], v212
	ds_read_b128 v[8:11], v212 offset:1456
	ds_read_b128 v[12:15], v212 offset:8736
	;; [unrolled: 1-line block ×8, first 2 shown]
	v_accvgpr_read_b32 v27, a37
	s_waitcnt lgkmcnt(9)
	v_mul_f64 v[24:25], v[28:29], v[2:3]
	v_fmac_f64_e32 v[24:25], v[26:27], v[0:1]
	v_mul_f64 v[0:1], v[28:29], v[0:1]
	v_accvgpr_read_b32 v28, a32
	v_accvgpr_read_b32 v30, a34
	;; [unrolled: 1-line block ×3, first 2 shown]
	v_fma_f64 v[2:3], v[26:27], v[2:3], -v[0:1]
	v_accvgpr_read_b32 v29, a33
	s_waitcnt lgkmcnt(6)
	v_mul_f64 v[26:27], v[30:31], v[14:15]
	v_mul_f64 v[0:1], v[30:31], v[12:13]
	v_fmac_f64_e32 v[26:27], v[28:29], v[12:13]
	v_fma_f64 v[14:15], v[28:29], v[14:15], -v[0:1]
	s_waitcnt lgkmcnt(5)
	v_mul_f64 v[28:29], v[36:37], v[18:19]
	v_mul_f64 v[0:1], v[36:37], v[16:17]
	v_fmac_f64_e32 v[28:29], v[34:35], v[16:17]
	v_fma_f64 v[18:19], v[34:35], v[18:19], -v[0:1]
	v_accvgpr_read_b32 v32, a40
	v_accvgpr_read_b32 v34, a42
	;; [unrolled: 1-line block ×4, first 2 shown]
	s_waitcnt lgkmcnt(1)
	v_mul_f64 v[30:31], v[34:35], v[110:111]
	v_mul_f64 v[0:1], v[34:35], v[108:109]
	v_fmac_f64_e32 v[30:31], v[32:33], v[108:109]
	v_fma_f64 v[32:33], v[32:33], v[110:111], -v[0:1]
	s_waitcnt lgkmcnt(0)
	v_mul_f64 v[34:35], v[40:41], v[114:115]
	v_mul_f64 v[0:1], v[40:41], v[112:113]
	v_fmac_f64_e32 v[34:35], v[38:39], v[112:113]
	v_fma_f64 v[40:41], v[38:39], v[114:115], -v[0:1]
	v_add_f64 v[0:1], v[4:5], -v[24:25]
	v_add_f64 v[2:3], v[6:7], -v[2:3]
	v_add_f64 v[12:13], v[8:9], -v[26:27]
	v_add_f64 v[24:25], v[100:101], -v[30:31]
	v_add_f64 v[26:27], v[102:103], -v[32:33]
	v_fma_f64 v[4:5], v[4:5], 2.0, -v[0:1]
	v_fma_f64 v[6:7], v[6:7], 2.0, -v[2:3]
	v_add_f64 v[14:15], v[10:11], -v[14:15]
	v_add_f64 v[16:17], v[20:21], -v[28:29]
	v_add_f64 v[18:19], v[22:23], -v[18:19]
	v_fma_f64 v[36:37], v[100:101], 2.0, -v[24:25]
	v_fma_f64 v[38:39], v[102:103], 2.0, -v[26:27]
	v_add_f64 v[28:29], v[104:105], -v[34:35]
	v_add_f64 v[30:31], v[106:107], -v[40:41]
	v_fma_f64 v[8:9], v[8:9], 2.0, -v[12:13]
	v_fma_f64 v[10:11], v[10:11], 2.0, -v[14:15]
	;; [unrolled: 1-line block ×6, first 2 shown]
	s_barrier
	ds_write_b128 v179, v[4:7]
	ds_write_b128 v179, v[0:3] offset:208
	ds_write_b128 v181, v[8:11]
	ds_write_b128 v181, v[12:15] offset:208
	;; [unrolled: 2-line block ×5, first 2 shown]
	s_waitcnt lgkmcnt(0)
	s_barrier
	ds_read_b128 v[36:39], v212
	ds_read_b128 v[120:123], v212 offset:2080
	ds_read_b128 v[116:119], v212 offset:4160
	;; [unrolled: 1-line block ×6, first 2 shown]
	s_and_saveexec_b64 s[0:1], s[2:3]
	s_cbranch_execz .LBB0_19
; %bb.18:
	ds_read_b128 v[24:27], v212 offset:1456
	ds_read_b128 v[32:35], v212 offset:3536
	;; [unrolled: 1-line block ×7, first 2 shown]
.LBB0_19:
	s_or_b64 exec, exec, s[0:1]
	s_waitcnt lgkmcnt(5)
	v_mul_f64 v[0:1], v[58:59], v[122:123]
	s_waitcnt lgkmcnt(4)
	v_mul_f64 v[4:5], v[54:55], v[118:119]
	;; [unrolled: 2-line block ×4, first 2 shown]
	v_fmac_f64_e32 v[0:1], v[56:57], v[120:121]
	v_mul_f64 v[2:3], v[58:59], v[120:121]
	v_fmac_f64_e32 v[4:5], v[52:53], v[116:117]
	v_mul_f64 v[6:7], v[54:55], v[116:117]
	v_mul_f64 v[10:11], v[50:51], v[114:115]
	;; [unrolled: 1-line block ×3, first 2 shown]
	v_fmac_f64_e32 v[18:19], v[64:65], v[104:105]
	v_mul_f64 v[20:21], v[66:67], v[104:105]
	v_fmac_f64_e32 v[22:23], v[60:61], v[40:41]
	v_mul_f64 v[40:41], v[62:63], v[40:41]
	v_fma_f64 v[2:3], v[56:57], v[122:123], -v[2:3]
	v_fma_f64 v[6:7], v[52:53], v[118:119], -v[6:7]
	v_fmac_f64_e32 v[10:11], v[48:49], v[112:113]
	v_mul_f64 v[12:13], v[50:51], v[112:113]
	v_fmac_f64_e32 v[14:15], v[44:45], v[108:109]
	v_mul_f64 v[16:17], v[46:47], v[108:109]
	v_fma_f64 v[20:21], v[64:65], v[106:107], -v[20:21]
	v_fma_f64 v[40:41], v[60:61], v[42:43], -v[40:41]
	v_add_f64 v[42:43], v[0:1], v[22:23]
	v_add_f64 v[0:1], v[0:1], -v[22:23]
	v_add_f64 v[22:23], v[4:5], v[18:19]
	v_fma_f64 v[12:13], v[48:49], v[114:115], -v[12:13]
	v_fma_f64 v[16:17], v[44:45], v[110:111], -v[16:17]
	v_add_f64 v[44:45], v[2:3], v[40:41]
	v_add_f64 v[2:3], v[2:3], -v[40:41]
	v_add_f64 v[40:41], v[6:7], v[20:21]
	v_add_f64 v[4:5], v[4:5], -v[18:19]
	;; [unrolled: 2-line block ×5, first 2 shown]
	v_add_f64 v[16:17], v[40:41], v[44:45]
	v_add_f64 v[50:51], v[10:11], v[4:5]
	;; [unrolled: 1-line block ×3, first 2 shown]
	v_add_f64 v[46:47], v[22:23], -v[42:43]
	v_add_f64 v[42:43], v[42:43], -v[18:19]
	;; [unrolled: 1-line block ×3, first 2 shown]
	v_add_f64 v[52:53], v[12:13], v[6:7]
	v_add_f64 v[54:55], v[10:11], -v[4:5]
	v_add_f64 v[10:11], v[0:1], -v[10:11]
	;; [unrolled: 1-line block ×3, first 2 shown]
	v_add_f64 v[16:17], v[20:21], v[16:17]
	v_add_f64 v[18:19], v[50:51], v[0:1]
	;; [unrolled: 1-line block ×3, first 2 shown]
	s_mov_b32 s16, 0x37e14327
	s_mov_b32 s18, 0x36b3c0b5
	;; [unrolled: 1-line block ×5, first 2 shown]
	v_add_f64 v[48:49], v[40:41], -v[44:45]
	v_add_f64 v[44:45], v[44:45], -v[20:21]
	;; [unrolled: 1-line block ×6, first 2 shown]
	v_add_f64 v[20:21], v[52:53], v[2:3]
	v_add_f64 v[2:3], v[38:39], v[16:17]
	s_mov_b32 s17, 0x3fe948f6
	s_mov_b32 s19, 0x3fac98ee
	;; [unrolled: 1-line block ×5, first 2 shown]
	v_mov_b64_e32 v[58:59], v[0:1]
	s_mov_b32 s6, 0x5476071b
	s_mov_b32 s30, 0xb247c609
	v_mul_f64 v[36:37], v[42:43], s[16:17]
	v_mul_f64 v[38:39], v[44:45], s[16:17]
	;; [unrolled: 1-line block ×8, first 2 shown]
	v_fmac_f64_e32 v[58:59], s[28:29], v[14:15]
	v_mov_b64_e32 v[14:15], v[2:3]
	s_mov_b32 s7, 0x3fe77f67
	s_mov_b32 s23, 0xbfe77f67
	;; [unrolled: 1-line block ×7, first 2 shown]
	v_fmac_f64_e32 v[14:15], s[28:29], v[16:17]
	v_fma_f64 v[16:17], v[46:47], s[6:7], -v[42:43]
	v_fma_f64 v[42:43], v[48:49], s[6:7], -v[44:45]
	;; [unrolled: 1-line block ×3, first 2 shown]
	v_fmac_f64_e32 v[36:37], s[18:19], v[22:23]
	v_fma_f64 v[22:23], v[48:49], s[22:23], -v[38:39]
	v_fmac_f64_e32 v[38:39], s[18:19], v[40:41]
	v_fma_f64 v[40:41], v[4:5], s[0:1], -v[50:51]
	v_fmac_f64_e32 v[50:51], s[30:31], v[10:11]
	v_fma_f64 v[46:47], v[6:7], s[0:1], -v[52:53]
	v_fmac_f64_e32 v[52:53], s[30:31], v[12:13]
	v_fma_f64 v[48:49], v[10:11], s[26:27], -v[54:55]
	v_fma_f64 v[54:55], v[12:13], s[26:27], -v[56:57]
	s_mov_b32 s25, 0xbfdc38aa
	v_add_u32_e32 v8, 0x5b0, v213
	v_add_f64 v[56:57], v[36:37], v[58:59]
	v_add_f64 v[60:61], v[38:39], v[14:15]
	;; [unrolled: 1-line block ×6, first 2 shown]
	v_fmac_f64_e32 v[50:51], s[24:25], v[18:19]
	v_fmac_f64_e32 v[52:53], s[24:25], v[20:21]
	;; [unrolled: 1-line block ×6, first 2 shown]
	v_add_f64 v[4:5], v[52:53], v[56:57]
	v_add_f64 v[6:7], v[60:61], -v[50:51]
	v_add_f64 v[10:11], v[54:55], v[42:43]
	v_add_f64 v[12:13], v[22:23], -v[48:49]
	v_add_f64 v[14:15], v[36:37], -v[46:47]
	v_add_f64 v[16:17], v[40:41], v[38:39]
	v_add_f64 v[18:19], v[46:47], v[36:37]
	v_add_f64 v[20:21], v[38:39], -v[40:41]
	v_add_f64 v[36:37], v[42:43], -v[54:55]
	v_add_f64 v[38:39], v[48:49], v[22:23]
	v_add_f64 v[40:41], v[56:57], -v[52:53]
	v_add_f64 v[42:43], v[50:51], v[60:61]
	s_barrier
	ds_write_b128 v217, v[0:3]
	ds_write_b128 v217, v[4:7] offset:416
	ds_write_b128 v217, v[10:13] offset:832
	;; [unrolled: 1-line block ×6, first 2 shown]
	s_and_saveexec_b64 s[34:35], s[2:3]
	s_cbranch_execz .LBB0_21
; %bb.20:
	v_accvgpr_read_b32 v53, a23
	v_accvgpr_read_b32 v45, a31
	;; [unrolled: 1-line block ×12, first 2 shown]
	v_mul_f64 v[0:1], v[52:53], v[34:35]
	v_accvgpr_read_b32 v43, a29
	v_accvgpr_read_b32 v42, a28
	;; [unrolled: 1-line block ×4, first 2 shown]
	v_mul_f64 v[4:5], v[44:45], v[60:61]
	v_mul_f64 v[12:13], v[222:223], v[162:163]
	;; [unrolled: 1-line block ×3, first 2 shown]
	v_accvgpr_read_b32 v47, a17
	v_accvgpr_read_b32 v46, a16
	v_mul_f64 v[18:19], v[48:49], v[30:31]
	v_accvgpr_read_b32 v55, a25
	v_accvgpr_read_b32 v54, a24
	v_mul_f64 v[20:21], v[56:57], v[166:167]
	v_fmac_f64_e32 v[0:1], v[50:51], v[32:33]
	v_fmac_f64_e32 v[4:5], v[42:43], v[58:59]
	;; [unrolled: 1-line block ×6, first 2 shown]
	v_add_f64 v[10:11], v[0:1], -v[4:5]
	v_add_f64 v[2:3], v[12:13], -v[14:15]
	;; [unrolled: 1-line block ×5, first 2 shown]
	v_add_f64 v[2:3], v[2:3], v[22:23]
	v_add_f64 v[40:41], v[2:3], v[10:11]
	v_mul_f64 v[2:3], v[44:45], v[58:59]
	v_fma_f64 v[42:43], v[42:43], v[60:61], -v[2:3]
	v_mul_f64 v[2:3], v[52:53], v[32:33]
	v_fma_f64 v[32:33], v[50:51], v[34:35], -v[2:3]
	v_mul_f64 v[2:3], v[56:57], v[164:165]
	v_mul_f64 v[36:37], v[6:7], s[20:21]
	v_fma_f64 v[44:45], v[54:55], v[166:167], -v[2:3]
	v_mul_f64 v[2:3], v[48:49], v[28:29]
	v_mul_f64 v[6:7], v[228:229], v[156:157]
	v_fma_f64 v[28:29], v[46:47], v[30:31], -v[2:3]
	v_fma_f64 v[46:47], v[226:227], v[158:159], -v[6:7]
	v_mul_f64 v[6:7], v[222:223], v[160:161]
	v_add_f64 v[56:57], v[0:1], v[4:5]
	v_add_f64 v[18:19], v[18:19], v[20:21]
	;; [unrolled: 1-line block ×4, first 2 shown]
	v_fma_f64 v[48:49], v[220:221], v[162:163], -v[6:7]
	v_add_f64 v[0:1], v[18:19], v[56:57]
	v_add_f64 v[4:5], v[14:15], v[12:13]
	;; [unrolled: 1-line block ×8, first 2 shown]
	v_mov_b64_e32 v[14:15], v[0:1]
	v_mov_b64_e32 v[26:27], v[2:3]
	v_fmac_f64_e32 v[14:15], s[28:29], v[12:13]
	v_add_f64 v[12:13], v[56:57], -v[4:5]
	v_add_f64 v[22:23], v[22:23], -v[10:11]
	v_fmac_f64_e32 v[26:27], s[28:29], v[50:51]
	v_add_f64 v[50:51], v[34:35], -v[6:7]
	v_mul_f64 v[20:21], v[12:13], s[16:17]
	v_add_f64 v[4:5], v[4:5], -v[18:19]
	v_mul_f64 v[10:11], v[22:23], s[0:1]
	v_fma_f64 v[38:39], s[30:31], v[16:17], v[36:37]
	v_mul_f64 v[50:51], v[50:51], s[16:17]
	v_mul_f64 v[24:25], v[4:5], s[18:19]
	v_fma_f64 v[4:5], s[18:19], v[4:5], v[20:21]
	v_fma_f64 v[60:61], v[16:17], s[26:27], -v[10:11]
	v_add_f64 v[16:17], v[30:31], -v[34:35]
	v_add_f64 v[58:59], v[4:5], v[14:15]
	v_add_f64 v[32:33], v[32:33], -v[42:43]
	v_add_f64 v[4:5], v[48:49], -v[46:47]
	;; [unrolled: 1-line block ×3, first 2 shown]
	v_fma_f64 v[10:11], v[16:17], s[22:23], -v[50:51]
	v_add_f64 v[18:19], v[18:19], -v[56:57]
	v_add_f64 v[6:7], v[6:7], -v[30:31]
	;; [unrolled: 1-line block ×3, first 2 shown]
	v_add_f64 v[30:31], v[10:11], v[26:27]
	v_fma_f64 v[10:11], v[18:19], s[22:23], -v[20:21]
	v_add_f64 v[20:21], v[28:29], -v[32:33]
	v_mul_f64 v[52:53], v[6:7], s[18:19]
	v_add_f64 v[42:43], v[32:33], -v[4:5]
	v_mul_f64 v[44:45], v[12:13], s[20:21]
	v_add_f64 v[4:5], v[4:5], v[28:29]
	v_add_f64 v[34:35], v[10:11], v[14:15]
	v_mul_f64 v[10:11], v[20:21], s[0:1]
	v_mul_u32_u24_e32 v9, 0xb6, v177
	v_fma_f64 v[6:7], s[18:19], v[6:7], v[50:51]
	v_fma_f64 v[46:47], s[30:31], v[42:43], v[44:45]
	v_add_f64 v[48:49], v[4:5], v[32:33]
	v_fma_f64 v[28:29], v[42:43], s[26:27], -v[10:11]
	v_fma_f64 v[16:17], v[16:17], s[6:7], -v[52:53]
	v_fma_f64 v[22:23], v[22:23], s[0:1], -v[36:37]
	v_fma_f64 v[18:19], v[18:19], s[6:7], -v[24:25]
	v_fma_f64 v[24:25], v[20:21], s[0:1], -v[44:45]
	v_add_u32_e32 v9, v9, v178
	v_fmac_f64_e32 v[38:39], s[24:25], v[40:41]
	v_add_f64 v[54:55], v[6:7], v[26:27]
	v_fmac_f64_e32 v[46:47], s[24:25], v[48:49]
	v_fmac_f64_e32 v[60:61], s[24:25], v[40:41]
	;; [unrolled: 1-line block ×3, first 2 shown]
	v_add_f64 v[26:27], v[16:17], v[26:27]
	v_fmac_f64_e32 v[22:23], s[24:25], v[40:41]
	v_add_f64 v[18:19], v[18:19], v[14:15]
	v_fmac_f64_e32 v[24:25], s[24:25], v[48:49]
	v_lshl_add_u32 v9, v9, 4, v219
	v_add_f64 v[6:7], v[38:39], v[54:55]
	v_add_f64 v[4:5], v[58:59], -v[46:47]
	v_add_f64 v[12:13], v[60:61], v[30:31]
	v_add_f64 v[10:11], v[34:35], -v[28:29]
	v_add_f64 v[16:17], v[26:27], -v[22:23]
	v_add_f64 v[14:15], v[24:25], v[18:19]
	v_add_f64 v[20:21], v[22:23], v[26:27]
	v_add_f64 v[18:19], v[18:19], -v[24:25]
	v_add_f64 v[24:25], v[30:31], -v[60:61]
	v_add_f64 v[22:23], v[28:29], v[34:35]
	v_add_f64 v[28:29], v[54:55], -v[38:39]
	v_add_f64 v[26:27], v[46:47], v[58:59]
	ds_write_b128 v9, v[0:3]
	ds_write_b128 v9, v[26:29] offset:416
	ds_write_b128 v9, v[22:25] offset:832
	;; [unrolled: 1-line block ×6, first 2 shown]
.LBB0_21:
	s_or_b64 exec, exec, s[34:35]
	s_waitcnt lgkmcnt(0)
	s_barrier
	ds_read_b128 v[0:3], v212
	ds_read_b128 v[4:7], v212 offset:1456
	ds_read_b128 v[10:13], v212 offset:2912
	;; [unrolled: 1-line block ×9, first 2 shown]
	s_waitcnt lgkmcnt(7)
	v_mul_f64 v[42:43], v[82:83], v[12:13]
	v_fmac_f64_e32 v[42:43], v[80:81], v[10:11]
	v_mul_f64 v[10:11], v[82:83], v[10:11]
	v_fma_f64 v[44:45], v[80:81], v[12:13], -v[10:11]
	s_waitcnt lgkmcnt(5)
	v_mul_f64 v[10:11], v[78:79], v[18:19]
	v_mul_f64 v[46:47], v[78:79], v[20:21]
	v_fma_f64 v[48:49], v[76:77], v[20:21], -v[10:11]
	s_waitcnt lgkmcnt(3)
	v_mul_f64 v[50:51], v[74:75], v[28:29]
	v_mul_f64 v[10:11], v[74:75], v[26:27]
	v_fmac_f64_e32 v[46:47], v[76:77], v[18:19]
	v_fmac_f64_e32 v[50:51], v[72:73], v[26:27]
	v_fma_f64 v[26:27], v[72:73], v[28:29], -v[10:11]
	s_waitcnt lgkmcnt(1)
	v_mul_f64 v[10:11], v[70:71], v[34:35]
	v_mul_f64 v[20:21], v[70:71], v[36:37]
	v_fma_f64 v[28:29], v[68:69], v[36:37], -v[10:11]
	v_mul_f64 v[36:37], v[98:99], v[16:17]
	v_mul_f64 v[10:11], v[98:99], v[14:15]
	v_add_f64 v[12:13], v[46:47], v[50:51]
	s_mov_b32 s2, 0x134454ff
	v_fmac_f64_e32 v[20:21], v[68:69], v[34:35]
	v_fmac_f64_e32 v[36:37], v[96:97], v[14:15]
	v_fma_f64 v[52:53], v[96:97], v[16:17], -v[10:11]
	v_mul_f64 v[54:55], v[94:95], v[24:25]
	v_mul_f64 v[10:11], v[94:95], v[22:23]
	v_fma_f64 v[14:15], -0.5, v[12:13], v[0:1]
	v_add_f64 v[12:13], v[44:45], -v[28:29]
	s_mov_b32 s3, 0xbfee6f0e
	s_mov_b32 s0, 0x4755a5e
	;; [unrolled: 1-line block ×4, first 2 shown]
	v_fmac_f64_e32 v[54:55], v[92:93], v[22:23]
	v_fma_f64 v[56:57], v[92:93], v[24:25], -v[10:11]
	v_fma_f64 v[18:19], s[2:3], v[12:13], v[14:15]
	v_add_f64 v[16:17], v[48:49], -v[26:27]
	s_mov_b32 s1, 0xbfe2cf23
	v_add_f64 v[22:23], v[42:43], -v[46:47]
	v_add_f64 v[24:25], v[20:21], -v[50:51]
	s_mov_b32 s6, 0x372fe950
	v_fmac_f64_e32 v[14:15], s[16:17], v[12:13]
	s_mov_b32 s19, 0x3fe2cf23
	s_mov_b32 s18, s0
	v_mul_f64 v[10:11], v[90:91], v[30:31]
	v_fmac_f64_e32 v[18:19], s[0:1], v[16:17]
	v_add_f64 v[22:23], v[22:23], v[24:25]
	s_mov_b32 s7, 0x3fd3c6ef
	v_fmac_f64_e32 v[14:15], s[18:19], v[16:17]
	v_fma_f64 v[60:61], v[88:89], v[32:33], -v[10:11]
	s_waitcnt lgkmcnt(0)
	v_mul_f64 v[10:11], v[86:87], v[38:39]
	v_fmac_f64_e32 v[18:19], s[6:7], v[22:23]
	v_fmac_f64_e32 v[14:15], s[6:7], v[22:23]
	v_add_f64 v[22:23], v[42:43], v[20:21]
	v_mul_f64 v[58:59], v[90:91], v[32:33]
	v_fma_f64 v[64:65], v[84:85], v[40:41], -v[10:11]
	v_add_f64 v[10:11], v[0:1], v[42:43]
	v_fmac_f64_e32 v[0:1], -0.5, v[22:23]
	v_fmac_f64_e32 v[58:59], v[88:89], v[30:31]
	v_add_f64 v[10:11], v[10:11], v[46:47]
	v_fma_f64 v[22:23], s[16:17], v[16:17], v[0:1]
	v_add_f64 v[24:25], v[46:47], -v[42:43]
	v_add_f64 v[30:31], v[50:51], -v[20:21]
	v_fmac_f64_e32 v[0:1], s[2:3], v[16:17]
	v_add_f64 v[16:17], v[48:49], v[26:27]
	v_add_f64 v[10:11], v[10:11], v[50:51]
	v_fmac_f64_e32 v[22:23], s[0:1], v[12:13]
	v_add_f64 v[24:25], v[24:25], v[30:31]
	v_fmac_f64_e32 v[0:1], s[18:19], v[12:13]
	v_fma_f64 v[16:17], -0.5, v[16:17], v[2:3]
	v_add_f64 v[30:31], v[42:43], -v[20:21]
	v_add_f64 v[10:11], v[10:11], v[20:21]
	v_fmac_f64_e32 v[22:23], s[6:7], v[24:25]
	v_fmac_f64_e32 v[0:1], s[6:7], v[24:25]
	v_fma_f64 v[20:21], s[16:17], v[30:31], v[16:17]
	v_add_f64 v[32:33], v[46:47], -v[50:51]
	v_add_f64 v[24:25], v[44:45], -v[48:49]
	v_add_f64 v[34:35], v[28:29], -v[26:27]
	v_fmac_f64_e32 v[16:17], s[2:3], v[30:31]
	v_add_f64 v[12:13], v[2:3], v[44:45]
	v_fmac_f64_e32 v[20:21], s[18:19], v[32:33]
	v_add_f64 v[24:25], v[24:25], v[34:35]
	;; [unrolled: 2-line block ×3, first 2 shown]
	v_fmac_f64_e32 v[20:21], s[6:7], v[24:25]
	v_fmac_f64_e32 v[16:17], s[6:7], v[24:25]
	v_add_f64 v[24:25], v[44:45], v[28:29]
	v_add_f64 v[12:13], v[12:13], v[26:27]
	v_fmac_f64_e32 v[2:3], -0.5, v[24:25]
	v_mul_f64 v[62:63], v[86:87], v[40:41]
	v_add_f64 v[12:13], v[12:13], v[28:29]
	v_fma_f64 v[24:25], s[2:3], v[32:33], v[2:3]
	v_add_f64 v[26:27], v[26:27], -v[28:29]
	v_fmac_f64_e32 v[2:3], s[16:17], v[32:33]
	v_add_f64 v[28:29], v[54:55], v[58:59]
	v_fmac_f64_e32 v[62:63], v[84:85], v[38:39]
	v_fmac_f64_e32 v[24:25], s[18:19], v[30:31]
	v_add_f64 v[34:35], v[48:49], -v[44:45]
	v_fmac_f64_e32 v[2:3], s[0:1], v[30:31]
	v_fma_f64 v[30:31], -0.5, v[28:29], v[4:5]
	v_add_f64 v[28:29], v[52:53], -v[64:65]
	v_add_f64 v[26:27], v[34:35], v[26:27]
	v_fma_f64 v[34:35], s[2:3], v[28:29], v[30:31]
	v_add_f64 v[32:33], v[56:57], -v[60:61]
	v_add_f64 v[38:39], v[36:37], -v[54:55]
	;; [unrolled: 1-line block ×3, first 2 shown]
	v_fmac_f64_e32 v[30:31], s[16:17], v[28:29]
	v_fmac_f64_e32 v[34:35], s[0:1], v[32:33]
	v_add_f64 v[38:39], v[38:39], v[40:41]
	v_fmac_f64_e32 v[30:31], s[18:19], v[32:33]
	v_fmac_f64_e32 v[34:35], s[6:7], v[38:39]
	;; [unrolled: 1-line block ×3, first 2 shown]
	v_add_f64 v[38:39], v[36:37], v[62:63]
	v_fmac_f64_e32 v[24:25], s[6:7], v[26:27]
	v_fmac_f64_e32 v[2:3], s[6:7], v[26:27]
	v_add_f64 v[26:27], v[4:5], v[36:37]
	v_fmac_f64_e32 v[4:5], -0.5, v[38:39]
	v_fma_f64 v[38:39], s[16:17], v[32:33], v[4:5]
	v_add_f64 v[40:41], v[54:55], -v[36:37]
	v_add_f64 v[42:43], v[58:59], -v[62:63]
	v_fmac_f64_e32 v[4:5], s[2:3], v[32:33]
	v_add_f64 v[32:33], v[56:57], v[60:61]
	v_fmac_f64_e32 v[38:39], s[0:1], v[28:29]
	v_add_f64 v[40:41], v[40:41], v[42:43]
	v_fmac_f64_e32 v[4:5], s[18:19], v[28:29]
	v_fma_f64 v[32:33], -0.5, v[32:33], v[6:7]
	v_add_f64 v[42:43], v[36:37], -v[62:63]
	v_fmac_f64_e32 v[38:39], s[6:7], v[40:41]
	v_fmac_f64_e32 v[4:5], s[6:7], v[40:41]
	v_fma_f64 v[36:37], s[16:17], v[42:43], v[32:33]
	v_add_f64 v[44:45], v[54:55], -v[58:59]
	v_add_f64 v[40:41], v[52:53], -v[56:57]
	;; [unrolled: 1-line block ×3, first 2 shown]
	v_fmac_f64_e32 v[32:33], s[2:3], v[42:43]
	v_fmac_f64_e32 v[36:37], s[18:19], v[44:45]
	v_add_f64 v[40:41], v[40:41], v[46:47]
	v_fmac_f64_e32 v[32:33], s[0:1], v[44:45]
	v_fmac_f64_e32 v[36:37], s[6:7], v[40:41]
	v_fmac_f64_e32 v[32:33], s[6:7], v[40:41]
	v_add_f64 v[40:41], v[52:53], v[64:65]
	v_add_f64 v[28:29], v[6:7], v[52:53]
	v_fmac_f64_e32 v[6:7], -0.5, v[40:41]
	v_add_f64 v[26:27], v[26:27], v[54:55]
	v_add_f64 v[28:29], v[28:29], v[56:57]
	v_fma_f64 v[40:41], s[2:3], v[44:45], v[6:7]
	v_add_f64 v[46:47], v[56:57], -v[52:53]
	v_add_f64 v[48:49], v[60:61], -v[64:65]
	v_fmac_f64_e32 v[6:7], s[16:17], v[44:45]
	v_add_f64 v[26:27], v[26:27], v[58:59]
	v_add_f64 v[28:29], v[28:29], v[60:61]
	v_fmac_f64_e32 v[40:41], s[18:19], v[42:43]
	v_add_f64 v[46:47], v[46:47], v[48:49]
	v_fmac_f64_e32 v[6:7], s[0:1], v[42:43]
	v_add_f64 v[26:27], v[26:27], v[62:63]
	v_add_f64 v[28:29], v[28:29], v[64:65]
	v_fmac_f64_e32 v[40:41], s[6:7], v[46:47]
	v_fmac_f64_e32 v[6:7], s[6:7], v[46:47]
	ds_write_b128 v213, v[10:13]
	ds_write_b128 v213, v[18:21] offset:2912
	ds_write_b128 v213, v[22:25] offset:5824
	;; [unrolled: 1-line block ×9, first 2 shown]
	s_waitcnt lgkmcnt(0)
	s_barrier
	s_and_b64 exec, exec, s[4:5]
	s_cbranch_execz .LBB0_23
; %bb.22:
	global_load_dwordx4 v[0:3], v214, s[14:15]
	global_load_dwordx4 v[4:7], v214, s[14:15] offset:1120
	global_load_dwordx4 v[8:11], v214, s[14:15] offset:2240
	;; [unrolled: 1-line block ×3, first 2 shown]
	v_mov_b32_e32 v215, 0
	s_movk_i32 s0, 0x1000
	v_lshl_add_u64 v[38:39], s[14:15], 0, v[214:215]
	v_add_co_u32_e32 v40, vcc, s0, v38
	v_mad_u64_u32 v[70:71], s[0:1], s10, v180, 0
	s_nop 0
	v_addc_co_u32_e32 v41, vcc, 0, v39, vcc
	global_load_dwordx4 v[16:19], v[40:41], off offset:384
	ds_read_b128 v[28:31], v213
	ds_read_b128 v[24:27], v213 offset:1120
	global_load_dwordx4 v[20:23], v[40:41], off offset:1504
	v_mov_b32_e32 v50, v71
	ds_read_b128 v[42:45], v213 offset:2240
	ds_read_b128 v[46:49], v213 offset:3360
	;; [unrolled: 1-line block ×3, first 2 shown]
	v_mad_u64_u32 v[56:57], s[4:5], s11, v180, v[50:51]
	global_load_dwordx4 v[50:53], v[40:41], off offset:2624
	v_mad_u64_u32 v[72:73], s[2:3], s8, v176, 0
	s_movk_i32 s3, 0x2000
	v_mov_b32_e32 v54, v73
	v_mad_u64_u32 v[54:55], s[4:5], s9, v176, v[54:55]
	v_add_co_u32_e32 v74, vcc, s3, v38
	v_mov_b32_e32 v71, v56
	s_nop 0
	v_addc_co_u32_e32 v75, vcc, 0, v39, vcc
	v_mov_b32_e32 v73, v54
	global_load_dwordx4 v[54:57], v[40:41], off offset:3744
	global_load_dwordx4 v[58:61], v[74:75], off offset:768
	;; [unrolled: 1-line block ×4, first 2 shown]
	v_mov_b32_e32 v36, s12
	v_mov_b32_e32 v37, s13
	v_lshl_add_u64 v[36:37], v[70:71], 4, v[36:37]
	v_mov_b32_e32 v82, 0x460
	v_lshl_add_u64 v[36:37], v[72:73], 4, v[36:37]
	s_mov_b32 s0, 0x12012012
	s_mul_i32 s2, s9, 0x460
	v_mad_u64_u32 v[40:41], s[4:5], s8, v82, v[36:37]
	s_mov_b32 s1, 0x3f520120
	s_movk_i32 s6, 0x3000
	v_add_u32_e32 v41, s2, v41
	v_mad_u64_u32 v[70:71], s[4:5], s8, v82, v[40:41]
	v_add_u32_e32 v71, s2, v71
	v_mad_u64_u32 v[72:73], s[4:5], s8, v82, v[70:71]
	v_add_u32_e32 v73, s2, v73
	s_waitcnt vmcnt(10) lgkmcnt(4)
	v_mul_f64 v[74:75], v[30:31], v[2:3]
	v_mul_f64 v[2:3], v[28:29], v[2:3]
	s_waitcnt vmcnt(9) lgkmcnt(3)
	v_mul_f64 v[76:77], v[26:27], v[6:7]
	v_mul_f64 v[6:7], v[24:25], v[6:7]
	;; [unrolled: 3-line block ×3, first 2 shown]
	v_fmac_f64_e32 v[74:75], v[28:29], v[0:1]
	v_fma_f64 v[2:3], v[0:1], v[30:31], -v[2:3]
	v_fmac_f64_e32 v[76:77], v[24:25], v[4:5]
	v_fma_f64 v[6:7], v[4:5], v[26:27], -v[6:7]
	;; [unrolled: 2-line block ×3, first 2 shown]
	v_mul_f64 v[0:1], v[74:75], s[0:1]
	v_mul_f64 v[2:3], v[2:3], s[0:1]
	v_add_co_u32_e32 v24, vcc, s6, v38
	v_mul_f64 v[4:5], v[76:77], s[0:1]
	v_mul_f64 v[6:7], v[6:7], s[0:1]
	;; [unrolled: 1-line block ×4, first 2 shown]
	global_store_dwordx4 v[36:37], v[0:3], off
	global_store_dwordx4 v[40:41], v[4:7], off
	;; [unrolled: 1-line block ×3, first 2 shown]
	v_addc_co_u32_e32 v25, vcc, 0, v39, vcc
	global_load_dwordx4 v[0:3], v[24:25], off offset:32
	s_waitcnt vmcnt(11) lgkmcnt(1)
	v_mul_f64 v[80:81], v[48:49], v[14:15]
	v_mul_f64 v[14:15], v[46:47], v[14:15]
	ds_read_b128 v[4:7], v213 offset:5600
	v_fmac_f64_e32 v[80:81], v[46:47], v[12:13]
	v_fma_f64 v[14:15], v[12:13], v[48:49], -v[14:15]
	v_mul_f64 v[12:13], v[80:81], s[0:1]
	v_mul_f64 v[14:15], v[14:15], s[0:1]
	s_waitcnt vmcnt(10) lgkmcnt(1)
	v_mul_f64 v[8:9], v[34:35], v[18:19]
	v_mul_f64 v[10:11], v[32:33], v[18:19]
	global_store_dwordx4 v[72:73], v[12:15], off
	v_fmac_f64_e32 v[8:9], v[32:33], v[16:17]
	v_fma_f64 v[10:11], v[16:17], v[34:35], -v[10:11]
	v_mad_u64_u32 v[12:13], s[4:5], s8, v82, v[72:73]
	v_mul_f64 v[8:9], v[8:9], s[0:1]
	v_mul_f64 v[10:11], v[10:11], s[0:1]
	v_add_u32_e32 v13, s2, v13
	global_store_dwordx4 v[12:13], v[8:11], off
	v_mad_u64_u32 v[16:17], s[4:5], s8, v82, v[12:13]
	s_waitcnt vmcnt(11) lgkmcnt(0)
	v_mul_f64 v[8:9], v[6:7], v[22:23]
	v_fmac_f64_e32 v[8:9], v[4:5], v[20:21]
	v_mul_f64 v[4:5], v[4:5], v[22:23]
	v_fma_f64 v[4:5], v[20:21], v[6:7], -v[4:5]
	v_mul_f64 v[10:11], v[4:5], s[0:1]
	ds_read_b128 v[4:7], v213 offset:6720
	v_mul_f64 v[8:9], v[8:9], s[0:1]
	v_add_u32_e32 v17, s2, v17
	global_store_dwordx4 v[16:17], v[8:11], off
	ds_read_b128 v[8:11], v213 offset:7840
	s_waitcnt vmcnt(11) lgkmcnt(1)
	v_mul_f64 v[12:13], v[6:7], v[52:53]
	v_fmac_f64_e32 v[12:13], v[4:5], v[50:51]
	v_mul_f64 v[4:5], v[4:5], v[52:53]
	v_fma_f64 v[4:5], v[50:51], v[6:7], -v[4:5]
	v_mul_f64 v[14:15], v[4:5], s[0:1]
	v_mad_u64_u32 v[16:17], s[4:5], s8, v82, v[16:17]
	s_waitcnt vmcnt(10) lgkmcnt(0)
	v_mul_f64 v[4:5], v[10:11], v[56:57]
	v_mul_f64 v[6:7], v[8:9], v[56:57]
	v_mul_f64 v[12:13], v[12:13], s[0:1]
	v_add_u32_e32 v17, s2, v17
	v_fmac_f64_e32 v[4:5], v[8:9], v[54:55]
	v_fma_f64 v[6:7], v[54:55], v[10:11], -v[6:7]
	ds_read_b128 v[8:11], v213 offset:8960
	global_store_dwordx4 v[16:17], v[12:15], off
	v_mad_u64_u32 v[16:17], s[4:5], s8, v82, v[16:17]
	v_mul_f64 v[4:5], v[4:5], s[0:1]
	v_mul_f64 v[6:7], v[6:7], s[0:1]
	v_add_u32_e32 v17, s2, v17
	global_store_dwordx4 v[16:17], v[4:7], off
	ds_read_b128 v[4:7], v213 offset:10080
	s_waitcnt vmcnt(11) lgkmcnt(1)
	v_mul_f64 v[12:13], v[10:11], v[60:61]
	v_fmac_f64_e32 v[12:13], v[8:9], v[58:59]
	v_mul_f64 v[8:9], v[8:9], v[60:61]
	v_fma_f64 v[8:9], v[58:59], v[10:11], -v[8:9]
	v_mul_f64 v[14:15], v[8:9], s[0:1]
	s_waitcnt vmcnt(10) lgkmcnt(0)
	v_mul_f64 v[8:9], v[6:7], v[64:65]
	v_fmac_f64_e32 v[8:9], v[4:5], v[62:63]
	v_mul_f64 v[4:5], v[4:5], v[64:65]
	v_mad_u64_u32 v[16:17], s[4:5], s8, v82, v[16:17]
	v_fma_f64 v[4:5], v[62:63], v[6:7], -v[4:5]
	v_mul_f64 v[12:13], v[12:13], s[0:1]
	v_add_u32_e32 v17, s2, v17
	v_mul_f64 v[10:11], v[4:5], s[0:1]
	ds_read_b128 v[4:7], v213 offset:11200
	global_store_dwordx4 v[16:17], v[12:15], off
	v_mad_u64_u32 v[16:17], s[4:5], s8, v82, v[16:17]
	v_mul_f64 v[8:9], v[8:9], s[0:1]
	v_add_u32_e32 v17, s2, v17
	global_store_dwordx4 v[16:17], v[8:11], off
	ds_read_b128 v[8:11], v213 offset:12320
	s_waitcnt vmcnt(11) lgkmcnt(1)
	v_mul_f64 v[12:13], v[6:7], v[68:69]
	v_fmac_f64_e32 v[12:13], v[4:5], v[66:67]
	v_mul_f64 v[4:5], v[4:5], v[68:69]
	v_fma_f64 v[4:5], v[66:67], v[6:7], -v[4:5]
	v_mad_u64_u32 v[16:17], s[4:5], s8, v82, v[16:17]
	v_mul_f64 v[12:13], v[12:13], s[0:1]
	v_mul_f64 v[14:15], v[4:5], s[0:1]
	v_add_u32_e32 v17, s2, v17
	s_waitcnt vmcnt(7) lgkmcnt(0)
	v_mul_f64 v[4:5], v[10:11], v[2:3]
	v_mul_f64 v[2:3], v[8:9], v[2:3]
	global_store_dwordx4 v[16:17], v[12:15], off
	v_fmac_f64_e32 v[4:5], v[8:9], v[0:1]
	v_fma_f64 v[0:1], v[0:1], v[10:11], -v[2:3]
	v_mad_u64_u32 v[12:13], s[4:5], s8, v82, v[16:17]
	v_mul_f64 v[4:5], v[4:5], s[0:1]
	v_mul_f64 v[6:7], v[0:1], s[0:1]
	v_add_u32_e32 v13, s2, v13
	global_store_dwordx4 v[12:13], v[4:7], off
	global_load_dwordx4 v[0:3], v[24:25], off offset:1152
	ds_read_b128 v[4:7], v213 offset:13440
	s_waitcnt vmcnt(0) lgkmcnt(0)
	v_mul_f64 v[8:9], v[6:7], v[2:3]
	v_mul_f64 v[2:3], v[4:5], v[2:3]
	v_fmac_f64_e32 v[8:9], v[4:5], v[0:1]
	v_fma_f64 v[0:1], v[0:1], v[6:7], -v[2:3]
	v_mul_f64 v[8:9], v[8:9], s[0:1]
	v_mul_f64 v[10:11], v[0:1], s[0:1]
	v_mad_u64_u32 v[0:1], s[0:1], s8, v82, v[12:13]
	v_add_u32_e32 v1, s2, v1
	global_store_dwordx4 v[0:1], v[8:11], off
.LBB0_23:
	s_endpgm
	.section	.rodata,"a",@progbits
	.p2align	6, 0x0
	.amdhsa_kernel bluestein_single_fwd_len910_dim1_dp_op_CI_CI
		.amdhsa_group_segment_fixed_size 29120
		.amdhsa_private_segment_fixed_size 0
		.amdhsa_kernarg_size 104
		.amdhsa_user_sgpr_count 2
		.amdhsa_user_sgpr_dispatch_ptr 0
		.amdhsa_user_sgpr_queue_ptr 0
		.amdhsa_user_sgpr_kernarg_segment_ptr 1
		.amdhsa_user_sgpr_dispatch_id 0
		.amdhsa_user_sgpr_kernarg_preload_length 0
		.amdhsa_user_sgpr_kernarg_preload_offset 0
		.amdhsa_user_sgpr_private_segment_size 0
		.amdhsa_uses_dynamic_stack 0
		.amdhsa_enable_private_segment 0
		.amdhsa_system_sgpr_workgroup_id_x 1
		.amdhsa_system_sgpr_workgroup_id_y 0
		.amdhsa_system_sgpr_workgroup_id_z 0
		.amdhsa_system_sgpr_workgroup_info 0
		.amdhsa_system_vgpr_workitem_id 0
		.amdhsa_next_free_vgpr 366
		.amdhsa_next_free_sgpr 50
		.amdhsa_accum_offset 256
		.amdhsa_reserve_vcc 1
		.amdhsa_float_round_mode_32 0
		.amdhsa_float_round_mode_16_64 0
		.amdhsa_float_denorm_mode_32 3
		.amdhsa_float_denorm_mode_16_64 3
		.amdhsa_dx10_clamp 1
		.amdhsa_ieee_mode 1
		.amdhsa_fp16_overflow 0
		.amdhsa_tg_split 0
		.amdhsa_exception_fp_ieee_invalid_op 0
		.amdhsa_exception_fp_denorm_src 0
		.amdhsa_exception_fp_ieee_div_zero 0
		.amdhsa_exception_fp_ieee_overflow 0
		.amdhsa_exception_fp_ieee_underflow 0
		.amdhsa_exception_fp_ieee_inexact 0
		.amdhsa_exception_int_div_zero 0
	.end_amdhsa_kernel
	.text
.Lfunc_end0:
	.size	bluestein_single_fwd_len910_dim1_dp_op_CI_CI, .Lfunc_end0-bluestein_single_fwd_len910_dim1_dp_op_CI_CI
                                        ; -- End function
	.section	.AMDGPU.csdata,"",@progbits
; Kernel info:
; codeLenInByte = 21164
; NumSgprs: 56
; NumVgprs: 256
; NumAgprs: 110
; TotalNumVgprs: 366
; ScratchSize: 0
; MemoryBound: 0
; FloatMode: 240
; IeeeMode: 1
; LDSByteSize: 29120 bytes/workgroup (compile time only)
; SGPRBlocks: 6
; VGPRBlocks: 45
; NumSGPRsForWavesPerEU: 56
; NumVGPRsForWavesPerEU: 366
; AccumOffset: 256
; Occupancy: 1
; WaveLimiterHint : 1
; COMPUTE_PGM_RSRC2:SCRATCH_EN: 0
; COMPUTE_PGM_RSRC2:USER_SGPR: 2
; COMPUTE_PGM_RSRC2:TRAP_HANDLER: 0
; COMPUTE_PGM_RSRC2:TGID_X_EN: 1
; COMPUTE_PGM_RSRC2:TGID_Y_EN: 0
; COMPUTE_PGM_RSRC2:TGID_Z_EN: 0
; COMPUTE_PGM_RSRC2:TIDIG_COMP_CNT: 0
; COMPUTE_PGM_RSRC3_GFX90A:ACCUM_OFFSET: 63
; COMPUTE_PGM_RSRC3_GFX90A:TG_SPLIT: 0
	.text
	.p2alignl 6, 3212836864
	.fill 256, 4, 3212836864
	.type	__hip_cuid_ab8d7c7857604d3,@object ; @__hip_cuid_ab8d7c7857604d3
	.section	.bss,"aw",@nobits
	.globl	__hip_cuid_ab8d7c7857604d3
__hip_cuid_ab8d7c7857604d3:
	.byte	0                               ; 0x0
	.size	__hip_cuid_ab8d7c7857604d3, 1

	.ident	"AMD clang version 19.0.0git (https://github.com/RadeonOpenCompute/llvm-project roc-6.4.0 25133 c7fe45cf4b819c5991fe208aaa96edf142730f1d)"
	.section	".note.GNU-stack","",@progbits
	.addrsig
	.addrsig_sym __hip_cuid_ab8d7c7857604d3
	.amdgpu_metadata
---
amdhsa.kernels:
  - .agpr_count:     110
    .args:
      - .actual_access:  read_only
        .address_space:  global
        .offset:         0
        .size:           8
        .value_kind:     global_buffer
      - .actual_access:  read_only
        .address_space:  global
        .offset:         8
        .size:           8
        .value_kind:     global_buffer
      - .actual_access:  read_only
        .address_space:  global
        .offset:         16
        .size:           8
        .value_kind:     global_buffer
      - .actual_access:  read_only
        .address_space:  global
        .offset:         24
        .size:           8
        .value_kind:     global_buffer
      - .actual_access:  read_only
        .address_space:  global
        .offset:         32
        .size:           8
        .value_kind:     global_buffer
      - .offset:         40
        .size:           8
        .value_kind:     by_value
      - .address_space:  global
        .offset:         48
        .size:           8
        .value_kind:     global_buffer
      - .address_space:  global
        .offset:         56
        .size:           8
        .value_kind:     global_buffer
      - .address_space:  global
        .offset:         64
        .size:           8
        .value_kind:     global_buffer
      - .address_space:  global
        .offset:         72
        .size:           8
        .value_kind:     global_buffer
      - .offset:         80
        .size:           4
        .value_kind:     by_value
      - .address_space:  global
        .offset:         88
        .size:           8
        .value_kind:     global_buffer
      - .address_space:  global
        .offset:         96
        .size:           8
        .value_kind:     global_buffer
    .group_segment_fixed_size: 29120
    .kernarg_segment_align: 8
    .kernarg_segment_size: 104
    .language:       OpenCL C
    .language_version:
      - 2
      - 0
    .max_flat_workgroup_size: 182
    .name:           bluestein_single_fwd_len910_dim1_dp_op_CI_CI
    .private_segment_fixed_size: 0
    .sgpr_count:     56
    .sgpr_spill_count: 0
    .symbol:         bluestein_single_fwd_len910_dim1_dp_op_CI_CI.kd
    .uniform_work_group_size: 1
    .uses_dynamic_stack: false
    .vgpr_count:     366
    .vgpr_spill_count: 0
    .wavefront_size: 64
amdhsa.target:   amdgcn-amd-amdhsa--gfx950
amdhsa.version:
  - 1
  - 2
...

	.end_amdgpu_metadata
